;; amdgpu-corpus repo=ROCm/rocFFT kind=compiled arch=gfx906 opt=O3
	.text
	.amdgcn_target "amdgcn-amd-amdhsa--gfx906"
	.amdhsa_code_object_version 6
	.protected	fft_rtc_back_len1650_factors_11_2_3_5_5_wgs_110_tpt_110_halfLds_half_op_CI_CI_unitstride_sbrr_C2R_dirReg ; -- Begin function fft_rtc_back_len1650_factors_11_2_3_5_5_wgs_110_tpt_110_halfLds_half_op_CI_CI_unitstride_sbrr_C2R_dirReg
	.globl	fft_rtc_back_len1650_factors_11_2_3_5_5_wgs_110_tpt_110_halfLds_half_op_CI_CI_unitstride_sbrr_C2R_dirReg
	.p2align	8
	.type	fft_rtc_back_len1650_factors_11_2_3_5_5_wgs_110_tpt_110_halfLds_half_op_CI_CI_unitstride_sbrr_C2R_dirReg,@function
fft_rtc_back_len1650_factors_11_2_3_5_5_wgs_110_tpt_110_halfLds_half_op_CI_CI_unitstride_sbrr_C2R_dirReg: ; @fft_rtc_back_len1650_factors_11_2_3_5_5_wgs_110_tpt_110_halfLds_half_op_CI_CI_unitstride_sbrr_C2R_dirReg
; %bb.0:
	s_load_dwordx4 s[8:11], s[4:5], 0x58
	s_load_dwordx4 s[12:15], s[4:5], 0x0
	;; [unrolled: 1-line block ×3, first 2 shown]
	v_mul_u32_u24_e32 v1, 0x254, v0
	v_mov_b32_e32 v3, 0
	v_mov_b32_e32 v7, 0
	s_waitcnt lgkmcnt(0)
	v_cmp_lt_u64_e64 s[0:1], s[14:15], 2
	v_add_u32_sdwa v9, s6, v1 dst_sel:DWORD dst_unused:UNUSED_PAD src0_sel:DWORD src1_sel:WORD_1
	v_mov_b32_e32 v10, v3
	s_and_b64 vcc, exec, s[0:1]
	v_mov_b32_e32 v8, 0
	s_cbranch_vccnz .LBB0_8
; %bb.1:
	s_load_dwordx2 s[0:1], s[4:5], 0x10
	s_add_u32 s2, s18, 8
	s_addc_u32 s3, s19, 0
	s_add_u32 s6, s16, 8
	s_addc_u32 s7, s17, 0
	v_mov_b32_e32 v7, 0
	s_waitcnt lgkmcnt(0)
	s_add_u32 s20, s0, 8
	v_mov_b32_e32 v8, 0
	v_mov_b32_e32 v1, v7
	s_addc_u32 s21, s1, 0
	s_mov_b64 s[22:23], 1
	v_mov_b32_e32 v2, v8
.LBB0_2:                                ; =>This Inner Loop Header: Depth=1
	s_load_dwordx2 s[24:25], s[20:21], 0x0
                                        ; implicit-def: $vgpr5_vgpr6
	s_waitcnt lgkmcnt(0)
	v_or_b32_e32 v4, s25, v10
	v_cmp_ne_u64_e32 vcc, 0, v[3:4]
	s_and_saveexec_b64 s[0:1], vcc
	s_xor_b64 s[26:27], exec, s[0:1]
	s_cbranch_execz .LBB0_4
; %bb.3:                                ;   in Loop: Header=BB0_2 Depth=1
	v_cvt_f32_u32_e32 v4, s24
	v_cvt_f32_u32_e32 v5, s25
	s_sub_u32 s0, 0, s24
	s_subb_u32 s1, 0, s25
	v_mac_f32_e32 v4, 0x4f800000, v5
	v_rcp_f32_e32 v4, v4
	v_mul_f32_e32 v4, 0x5f7ffffc, v4
	v_mul_f32_e32 v5, 0x2f800000, v4
	v_trunc_f32_e32 v5, v5
	v_mac_f32_e32 v4, 0xcf800000, v5
	v_cvt_u32_f32_e32 v5, v5
	v_cvt_u32_f32_e32 v4, v4
	v_mul_lo_u32 v6, s0, v5
	v_mul_hi_u32 v11, s0, v4
	v_mul_lo_u32 v13, s1, v4
	v_mul_lo_u32 v12, s0, v4
	v_add_u32_e32 v6, v11, v6
	v_add_u32_e32 v6, v6, v13
	v_mul_hi_u32 v11, v4, v12
	v_mul_lo_u32 v13, v4, v6
	v_mul_hi_u32 v15, v4, v6
	v_mul_hi_u32 v14, v5, v12
	v_mul_lo_u32 v12, v5, v12
	v_mul_hi_u32 v16, v5, v6
	v_add_co_u32_e32 v11, vcc, v11, v13
	v_addc_co_u32_e32 v13, vcc, 0, v15, vcc
	v_mul_lo_u32 v6, v5, v6
	v_add_co_u32_e32 v11, vcc, v11, v12
	v_addc_co_u32_e32 v11, vcc, v13, v14, vcc
	v_addc_co_u32_e32 v12, vcc, 0, v16, vcc
	v_add_co_u32_e32 v6, vcc, v11, v6
	v_addc_co_u32_e32 v11, vcc, 0, v12, vcc
	v_add_co_u32_e32 v4, vcc, v4, v6
	v_addc_co_u32_e32 v5, vcc, v5, v11, vcc
	v_mul_lo_u32 v6, s0, v5
	v_mul_hi_u32 v11, s0, v4
	v_mul_lo_u32 v12, s1, v4
	v_mul_lo_u32 v13, s0, v4
	v_add_u32_e32 v6, v11, v6
	v_add_u32_e32 v6, v6, v12
	v_mul_lo_u32 v14, v4, v6
	v_mul_hi_u32 v15, v4, v13
	v_mul_hi_u32 v16, v4, v6
	v_mul_hi_u32 v12, v5, v13
	v_mul_lo_u32 v13, v5, v13
	v_mul_hi_u32 v11, v5, v6
	v_add_co_u32_e32 v14, vcc, v15, v14
	v_addc_co_u32_e32 v15, vcc, 0, v16, vcc
	v_mul_lo_u32 v6, v5, v6
	v_add_co_u32_e32 v13, vcc, v14, v13
	v_addc_co_u32_e32 v12, vcc, v15, v12, vcc
	v_addc_co_u32_e32 v11, vcc, 0, v11, vcc
	v_add_co_u32_e32 v6, vcc, v12, v6
	v_addc_co_u32_e32 v11, vcc, 0, v11, vcc
	v_add_co_u32_e32 v6, vcc, v4, v6
	v_addc_co_u32_e32 v11, vcc, v5, v11, vcc
	v_mad_u64_u32 v[4:5], s[0:1], v9, v11, 0
	v_mul_hi_u32 v12, v9, v6
	v_add_co_u32_e32 v13, vcc, v12, v4
	v_addc_co_u32_e32 v14, vcc, 0, v5, vcc
	v_mad_u64_u32 v[4:5], s[0:1], v10, v6, 0
	v_mad_u64_u32 v[11:12], s[0:1], v10, v11, 0
	v_add_co_u32_e32 v4, vcc, v13, v4
	v_addc_co_u32_e32 v4, vcc, v14, v5, vcc
	v_addc_co_u32_e32 v5, vcc, 0, v12, vcc
	v_add_co_u32_e32 v11, vcc, v4, v11
	v_addc_co_u32_e32 v6, vcc, 0, v5, vcc
	v_mul_lo_u32 v12, s25, v11
	v_mul_lo_u32 v13, s24, v6
	v_mad_u64_u32 v[4:5], s[0:1], s24, v11, 0
	v_add3_u32 v5, v5, v13, v12
	v_sub_u32_e32 v12, v10, v5
	v_mov_b32_e32 v13, s25
	v_sub_co_u32_e32 v4, vcc, v9, v4
	v_subb_co_u32_e64 v12, s[0:1], v12, v13, vcc
	v_subrev_co_u32_e64 v13, s[0:1], s24, v4
	v_subbrev_co_u32_e64 v12, s[0:1], 0, v12, s[0:1]
	v_cmp_le_u32_e64 s[0:1], s25, v12
	v_cndmask_b32_e64 v14, 0, -1, s[0:1]
	v_cmp_le_u32_e64 s[0:1], s24, v13
	v_cndmask_b32_e64 v13, 0, -1, s[0:1]
	v_cmp_eq_u32_e64 s[0:1], s25, v12
	v_cndmask_b32_e64 v12, v14, v13, s[0:1]
	v_add_co_u32_e64 v13, s[0:1], 2, v11
	v_addc_co_u32_e64 v14, s[0:1], 0, v6, s[0:1]
	v_add_co_u32_e64 v15, s[0:1], 1, v11
	v_addc_co_u32_e64 v16, s[0:1], 0, v6, s[0:1]
	v_subb_co_u32_e32 v5, vcc, v10, v5, vcc
	v_cmp_ne_u32_e64 s[0:1], 0, v12
	v_cmp_le_u32_e32 vcc, s25, v5
	v_cndmask_b32_e64 v12, v16, v14, s[0:1]
	v_cndmask_b32_e64 v14, 0, -1, vcc
	v_cmp_le_u32_e32 vcc, s24, v4
	v_cndmask_b32_e64 v4, 0, -1, vcc
	v_cmp_eq_u32_e32 vcc, s25, v5
	v_cndmask_b32_e32 v4, v14, v4, vcc
	v_cmp_ne_u32_e32 vcc, 0, v4
	v_cndmask_b32_e64 v4, v15, v13, s[0:1]
	v_cndmask_b32_e32 v6, v6, v12, vcc
	v_cndmask_b32_e32 v5, v11, v4, vcc
.LBB0_4:                                ;   in Loop: Header=BB0_2 Depth=1
	s_andn2_saveexec_b64 s[0:1], s[26:27]
	s_cbranch_execz .LBB0_6
; %bb.5:                                ;   in Loop: Header=BB0_2 Depth=1
	v_cvt_f32_u32_e32 v4, s24
	s_sub_i32 s26, 0, s24
	v_rcp_iflag_f32_e32 v4, v4
	v_mul_f32_e32 v4, 0x4f7ffffe, v4
	v_cvt_u32_f32_e32 v4, v4
	v_mul_lo_u32 v5, s26, v4
	v_mul_hi_u32 v5, v4, v5
	v_add_u32_e32 v4, v4, v5
	v_mul_hi_u32 v4, v9, v4
	v_mul_lo_u32 v5, v4, s24
	v_add_u32_e32 v6, 1, v4
	v_sub_u32_e32 v5, v9, v5
	v_subrev_u32_e32 v11, s24, v5
	v_cmp_le_u32_e32 vcc, s24, v5
	v_cndmask_b32_e32 v5, v5, v11, vcc
	v_cndmask_b32_e32 v4, v4, v6, vcc
	v_add_u32_e32 v6, 1, v4
	v_cmp_le_u32_e32 vcc, s24, v5
	v_cndmask_b32_e32 v5, v4, v6, vcc
	v_mov_b32_e32 v6, v3
.LBB0_6:                                ;   in Loop: Header=BB0_2 Depth=1
	s_or_b64 exec, exec, s[0:1]
	v_mul_lo_u32 v4, v6, s24
	v_mul_lo_u32 v13, v5, s25
	v_mad_u64_u32 v[11:12], s[0:1], v5, s24, 0
	s_load_dwordx2 s[0:1], s[6:7], 0x0
	s_load_dwordx2 s[24:25], s[2:3], 0x0
	v_add3_u32 v4, v12, v13, v4
	v_sub_co_u32_e32 v9, vcc, v9, v11
	v_subb_co_u32_e32 v4, vcc, v10, v4, vcc
	s_waitcnt lgkmcnt(0)
	v_mul_lo_u32 v10, s0, v4
	v_mul_lo_u32 v11, s1, v9
	v_mad_u64_u32 v[7:8], s[0:1], s0, v9, v[7:8]
	s_add_u32 s22, s22, 1
	s_addc_u32 s23, s23, 0
	s_add_u32 s2, s2, 8
	v_mul_lo_u32 v4, s24, v4
	v_mul_lo_u32 v12, s25, v9
	v_mad_u64_u32 v[1:2], s[0:1], s24, v9, v[1:2]
	v_add3_u32 v8, v11, v8, v10
	s_addc_u32 s3, s3, 0
	v_mov_b32_e32 v9, s14
	s_add_u32 s6, s6, 8
	v_mov_b32_e32 v10, s15
	s_addc_u32 s7, s7, 0
	v_cmp_ge_u64_e32 vcc, s[22:23], v[9:10]
	s_add_u32 s20, s20, 8
	v_add3_u32 v2, v12, v2, v4
	s_addc_u32 s21, s21, 0
	s_cbranch_vccnz .LBB0_9
; %bb.7:                                ;   in Loop: Header=BB0_2 Depth=1
	v_mov_b32_e32 v10, v6
	v_mov_b32_e32 v9, v5
	s_branch .LBB0_2
.LBB0_8:
	v_mov_b32_e32 v1, v7
	v_mov_b32_e32 v5, v9
	;; [unrolled: 1-line block ×4, first 2 shown]
.LBB0_9:
	s_load_dwordx2 s[2:3], s[4:5], 0x28
	s_lshl_b64 s[6:7], s[14:15], 3
	s_add_u32 s4, s18, s6
	s_addc_u32 s5, s19, s7
                                        ; implicit-def: $vgpr3
	s_waitcnt lgkmcnt(0)
	v_cmp_gt_u64_e64 s[0:1], s[2:3], v[5:6]
	v_cmp_le_u64_e32 vcc, s[2:3], v[5:6]
	s_and_saveexec_b64 s[2:3], vcc
	s_xor_b64 s[2:3], exec, s[2:3]
; %bb.10:
	s_mov_b32 s14, 0x253c826
	v_mul_hi_u32 v3, v0, s14
                                        ; implicit-def: $vgpr7_vgpr8
	v_mul_u32_u24_e32 v3, 0x6e, v3
	v_sub_u32_e32 v3, v0, v3
                                        ; implicit-def: $vgpr0
; %bb.11:
	s_or_saveexec_b64 s[2:3], s[2:3]
	s_load_dwordx2 s[4:5], s[4:5], 0x0
	s_xor_b64 exec, exec, s[2:3]
	s_cbranch_execz .LBB0_15
; %bb.12:
	s_add_u32 s6, s16, s6
	s_addc_u32 s7, s17, s7
	s_load_dwordx2 s[6:7], s[6:7], 0x0
	s_mov_b32 s14, 0x253c826
	v_mul_hi_u32 v3, v0, s14
	v_lshlrev_b64 v[7:8], 2, v[7:8]
	s_waitcnt lgkmcnt(0)
	v_mul_lo_u32 v4, s7, v5
	v_mul_lo_u32 v11, s6, v6
	v_mad_u64_u32 v[9:10], s[6:7], s6, v5, 0
	v_mul_u32_u24_e32 v3, 0x6e, v3
	v_sub_u32_e32 v3, v0, v3
	v_add3_u32 v10, v10, v11, v4
	v_lshlrev_b64 v[9:10], 2, v[9:10]
	v_mov_b32_e32 v0, s9
	v_add_co_u32_e32 v4, vcc, s8, v9
	v_addc_co_u32_e32 v0, vcc, v0, v10, vcc
	v_add_co_u32_e32 v4, vcc, v4, v7
	v_addc_co_u32_e32 v0, vcc, v0, v8, vcc
	v_lshlrev_b32_e32 v11, 2, v3
	v_add_co_u32_e32 v7, vcc, v4, v11
	v_addc_co_u32_e32 v8, vcc, 0, v0, vcc
	s_movk_i32 s6, 0x1000
	v_add_co_u32_e32 v9, vcc, s6, v7
	global_load_dword v12, v[7:8], off
	global_load_dword v13, v[7:8], off offset:440
	global_load_dword v14, v[7:8], off offset:880
	;; [unrolled: 1-line block ×7, first 2 shown]
	v_addc_co_u32_e32 v10, vcc, 0, v8, vcc
	global_load_dword v20, v[7:8], off offset:3520
	global_load_dword v21, v[7:8], off offset:3960
	global_load_dword v22, v[9:10], off offset:304
	global_load_dword v23, v[9:10], off offset:744
	global_load_dword v24, v[9:10], off offset:1184
	global_load_dword v25, v[9:10], off offset:1624
	global_load_dword v26, v[9:10], off offset:2064
	s_movk_i32 s6, 0x6d
	v_add_u32_e32 v7, 0, v11
	v_cmp_eq_u32_e32 vcc, s6, v3
	v_add_u32_e32 v8, 0x200, v7
	v_add_u32_e32 v9, 0x600, v7
	;; [unrolled: 1-line block ×6, first 2 shown]
	s_waitcnt vmcnt(13)
	ds_write2_b32 v7, v12, v13 offset1:110
	s_waitcnt vmcnt(11)
	ds_write2_b32 v8, v14, v15 offset0:92 offset1:202
	s_waitcnt vmcnt(9)
	ds_write2_b32 v9, v16, v17 offset0:56 offset1:166
	;; [unrolled: 2-line block ×6, first 2 shown]
	s_waitcnt vmcnt(0)
	ds_write_b32 v7, v26 offset:6160
	s_and_saveexec_b64 s[6:7], vcc
	s_cbranch_execz .LBB0_14
; %bb.13:
	v_add_co_u32_e32 v3, vcc, 0x1000, v4
	v_addc_co_u32_e32 v4, vcc, 0, v0, vcc
	global_load_dword v0, v[3:4], off offset:2504
	v_mov_b32_e32 v3, 0
	s_waitcnt vmcnt(0)
	ds_write_b32 v3, v0 offset:6600
	v_mov_b32_e32 v3, 0x6d
.LBB0_14:
	s_or_b64 exec, exec, s[6:7]
.LBB0_15:
	s_or_b64 exec, exec, s[2:3]
	v_lshlrev_b32_e32 v7, 2, v3
	v_add_u32_e32 v0, 0, v7
	s_waitcnt lgkmcnt(0)
	s_barrier
	v_sub_u32_e32 v10, 0, v7
	ds_read_u16 v13, v0
	ds_read_u16 v14, v10 offset:6600
	s_add_u32 s6, s12, 0x199c
	s_addc_u32 s7, s13, 0
	v_cmp_ne_u32_e32 vcc, 0, v3
                                        ; implicit-def: $vgpr8_vgpr9
	s_waitcnt lgkmcnt(0)
	v_add_f16_e32 v11, v14, v13
	v_sub_f16_e32 v12, v13, v14
	s_and_saveexec_b64 s[2:3], vcc
	s_xor_b64 s[2:3], exec, s[2:3]
	s_cbranch_execz .LBB0_17
; %bb.16:
	v_mov_b32_e32 v4, 0
	v_lshlrev_b64 v[8:9], 2, v[3:4]
	v_mov_b32_e32 v11, s7
	v_add_co_u32_e32 v8, vcc, s6, v8
	v_addc_co_u32_e32 v9, vcc, v11, v9, vcc
	global_load_dword v8, v[8:9], off
	ds_read_u16 v9, v10 offset:6602
	ds_read_u16 v11, v0 offset:2
	v_add_f16_e32 v12, v14, v13
	v_sub_f16_e32 v13, v13, v14
	s_waitcnt lgkmcnt(0)
	v_add_f16_e32 v14, v9, v11
	v_sub_f16_e32 v9, v11, v9
	s_waitcnt vmcnt(0)
	v_lshrrev_b32_e32 v11, 16, v8
	v_fma_f16 v15, v13, v11, v12
	v_fma_f16 v16, v14, v11, v9
	v_fma_f16 v17, -v13, v11, v12
	v_fma_f16 v9, v14, v11, -v9
	v_fma_f16 v11, -v8, v14, v15
	v_fma_f16 v12, v13, v8, v16
	v_fma_f16 v14, v8, v14, v17
	;; [unrolled: 1-line block ×3, first 2 shown]
	v_pack_b32_f16 v8, v14, v8
	ds_write_b32 v10, v8 offset:6600
	v_mov_b32_e32 v9, v4
	v_mov_b32_e32 v8, v3
.LBB0_17:
	s_andn2_saveexec_b64 s[2:3], s[2:3]
	s_cbranch_execz .LBB0_19
; %bb.18:
	v_mov_b32_e32 v4, 0
	ds_read_b32 v8, v4 offset:3300
	s_mov_b32 s8, 0xc0004000
	s_waitcnt lgkmcnt(0)
	v_pk_mul_f16 v13, v8, s8
	v_mov_b32_e32 v8, 0
	v_mov_b32_e32 v9, 0
	ds_write_b32 v4, v13 offset:3300
.LBB0_19:
	s_or_b64 exec, exec, s[2:3]
	v_lshlrev_b64 v[8:9], 2, v[8:9]
	v_mov_b32_e32 v4, s7
	v_add_co_u32_e32 v8, vcc, s6, v8
	v_addc_co_u32_e32 v9, vcc, v4, v9, vcc
	global_load_dword v4, v[8:9], off offset:440
	global_load_dword v13, v[8:9], off offset:880
	;; [unrolled: 1-line block ×4, first 2 shown]
	s_mov_b32 s2, 0x5040100
	v_perm_b32 v11, v12, v11, s2
	ds_write_b32 v0, v11
	ds_read_b32 v11, v0 offset:440
	ds_read_b32 v12, v10 offset:6160
	global_load_dword v16, v[8:9], off offset:2200
	global_load_dword v17, v[8:9], off offset:2640
	v_cmp_gt_u32_e32 vcc, 55, v3
	s_waitcnt lgkmcnt(0)
	v_add_f16_e32 v18, v11, v12
	v_add_f16_sdwa v19, v12, v11 dst_sel:DWORD dst_unused:UNUSED_PAD src0_sel:WORD_1 src1_sel:WORD_1
	v_sub_f16_e32 v20, v11, v12
	v_sub_f16_sdwa v11, v11, v12 dst_sel:DWORD dst_unused:UNUSED_PAD src0_sel:WORD_1 src1_sel:WORD_1
	s_waitcnt vmcnt(5)
	v_lshrrev_b32_e32 v12, 16, v4
	v_fma_f16 v21, v20, v12, v18
	v_fma_f16 v22, v19, v12, v11
	v_fma_f16 v18, -v20, v12, v18
	v_fma_f16 v11, v19, v12, -v11
	v_fma_f16 v12, -v4, v19, v21
	v_fma_f16 v21, v20, v4, v22
	v_fma_f16 v18, v4, v19, v18
	v_fma_f16 v4, v20, v4, v11
	v_pack_b32_f16 v11, v12, v21
	v_pack_b32_f16 v4, v18, v4
	ds_write_b32 v0, v11 offset:440
	ds_write_b32 v10, v4 offset:6160
	ds_read_b32 v4, v0 offset:880
	ds_read_b32 v11, v10 offset:5720
	s_waitcnt vmcnt(4)
	v_lshrrev_b32_e32 v12, 16, v13
	s_waitcnt lgkmcnt(0)
	v_add_f16_e32 v18, v4, v11
	v_add_f16_sdwa v19, v11, v4 dst_sel:DWORD dst_unused:UNUSED_PAD src0_sel:WORD_1 src1_sel:WORD_1
	v_sub_f16_e32 v20, v4, v11
	v_sub_f16_sdwa v4, v4, v11 dst_sel:DWORD dst_unused:UNUSED_PAD src0_sel:WORD_1 src1_sel:WORD_1
	v_fma_f16 v11, v20, v12, v18
	v_fma_f16 v21, v19, v12, v4
	v_fma_f16 v18, -v20, v12, v18
	v_fma_f16 v4, v19, v12, -v4
	v_fma_f16 v11, -v13, v19, v11
	v_fma_f16 v12, v20, v13, v21
	v_fma_f16 v18, v13, v19, v18
	v_fma_f16 v4, v20, v13, v4
	v_pack_b32_f16 v11, v11, v12
	v_pack_b32_f16 v4, v18, v4
	ds_write_b32 v0, v11 offset:880
	ds_write_b32 v10, v4 offset:5720
	ds_read_b32 v4, v0 offset:1320
	ds_read_b32 v11, v10 offset:5280
	s_waitcnt vmcnt(3)
	v_lshrrev_b32_e32 v12, 16, v14
	s_waitcnt lgkmcnt(0)
	v_add_f16_e32 v13, v4, v11
	v_add_f16_sdwa v18, v11, v4 dst_sel:DWORD dst_unused:UNUSED_PAD src0_sel:WORD_1 src1_sel:WORD_1
	v_sub_f16_e32 v19, v4, v11
	v_sub_f16_sdwa v4, v4, v11 dst_sel:DWORD dst_unused:UNUSED_PAD src0_sel:WORD_1 src1_sel:WORD_1
	;; [unrolled: 21-line block ×5, first 2 shown]
	v_fma_f16 v11, v15, v12, v13
	v_fma_f16 v16, v14, v12, v4
	v_fma_f16 v13, -v15, v12, v13
	v_fma_f16 v4, v14, v12, -v4
	v_fma_f16 v11, -v17, v14, v11
	v_fma_f16 v12, v15, v17, v16
	v_fma_f16 v13, v17, v14, v13
	;; [unrolled: 1-line block ×3, first 2 shown]
	v_pack_b32_f16 v11, v11, v12
	v_pack_b32_f16 v4, v13, v4
	ds_write_b32 v0, v11 offset:2640
	ds_write_b32 v10, v4 offset:3960
	s_and_saveexec_b64 s[2:3], vcc
	s_cbranch_execz .LBB0_21
; %bb.20:
	global_load_dword v4, v[8:9], off offset:3080
	ds_read_b32 v8, v0 offset:3080
	ds_read_b32 v9, v10 offset:3520
	s_waitcnt lgkmcnt(0)
	v_add_f16_e32 v11, v8, v9
	v_add_f16_sdwa v12, v9, v8 dst_sel:DWORD dst_unused:UNUSED_PAD src0_sel:WORD_1 src1_sel:WORD_1
	v_sub_f16_e32 v13, v8, v9
	v_sub_f16_sdwa v8, v8, v9 dst_sel:DWORD dst_unused:UNUSED_PAD src0_sel:WORD_1 src1_sel:WORD_1
	s_waitcnt vmcnt(0)
	v_lshrrev_b32_e32 v9, 16, v4
	v_fma_f16 v14, v13, v9, v11
	v_fma_f16 v15, v12, v9, v8
	v_fma_f16 v11, -v13, v9, v11
	v_fma_f16 v8, v12, v9, -v8
	v_fma_f16 v9, -v4, v12, v14
	v_fma_f16 v14, v13, v4, v15
	v_fma_f16 v11, v4, v12, v11
	;; [unrolled: 1-line block ×3, first 2 shown]
	v_pack_b32_f16 v8, v9, v14
	v_pack_b32_f16 v4, v11, v4
	ds_write_b32 v0, v8 offset:3080
	ds_write_b32 v10, v4 offset:3520
.LBB0_21:
	s_or_b64 exec, exec, s[2:3]
	v_add_u32_e32 v4, 0x200, v0
	s_waitcnt lgkmcnt(0)
	s_barrier
	s_barrier
	ds_read2_b32 v[18:19], v4 offset0:22 offset1:132
	v_add_u32_e32 v10, 0x400, v0
	v_add_u32_e32 v30, 0x600, v0
	;; [unrolled: 1-line block ×3, first 2 shown]
	ds_read2_b32 v[8:9], v0 offset1:110
	ds_read2_b32 v[10:11], v10 offset0:44 offset1:154
	ds_read2_b32 v[12:13], v30 offset0:66 offset1:176
	v_add_u32_e32 v31, 0x1400, v0
	ds_read2_b32 v[14:15], v14 offset0:92 offset1:202
	ds_read2_b32 v[16:17], v31 offset0:70 offset1:180
	s_mov_b32 s18, 0xb853
	s_movk_i32 s9, 0x3abb
	s_mov_b32 s14, 0xffff
	s_waitcnt lgkmcnt(1)
	v_pk_add_f16 v65, v18, v14 neg_lo:[0,1] neg_hi:[0,1]
	v_pk_add_f16 v64, v14, v18
	v_pk_mul_f16 v20, v65, s18 op_sel_hi:[1,0]
	v_pk_fma_f16 v34, v64, s9, v20 op_sel:[0,0,1] op_sel_hi:[1,0,0]
	v_pk_fma_f16 v35, v64, s9, v20 op_sel:[0,0,1] op_sel_hi:[1,0,0] neg_lo:[0,0,1] neg_hi:[0,0,1]
	v_bfi_b32 v20, s14, v34, v35
	s_mov_b32 s15, 0xbb47
	s_waitcnt lgkmcnt(0)
	v_pk_add_f16 v67, v10, v16 neg_lo:[0,1] neg_hi:[0,1]
	s_movk_i32 s8, 0x36a6
	v_pk_add_f16 v22, v8, v20
	v_pk_add_f16 v66, v16, v10
	v_pk_mul_f16 v20, v67, s15 op_sel_hi:[1,0]
	v_pk_fma_f16 v36, v66, s8, v20 op_sel:[0,0,1] op_sel_hi:[1,0,0]
	v_pk_fma_f16 v37, v66, s8, v20 op_sel:[0,0,1] op_sel_hi:[1,0,0] neg_lo:[0,0,1] neg_hi:[0,0,1]
	v_add_u32_e32 v20, 0x1200, v0
	ds_read2_b32 v[20:21], v20 offset0:48 offset1:158
	v_bfi_b32 v23, s14, v36, v37
	s_mov_b32 s17, 0xbbeb
	v_pk_add_f16 v26, v23, v22
	s_mov_b32 s16, 0xb08e
	s_waitcnt lgkmcnt(0)
	v_pk_add_f16 v69, v12, v20 neg_lo:[0,1] neg_hi:[0,1]
	v_pk_add_f16 v68, v20, v12
	v_pk_mul_f16 v22, v69, s17 op_sel_hi:[1,0]
	v_pk_fma_f16 v38, v68, s16, v22 op_sel:[0,0,1] op_sel_hi:[1,0,0]
	v_pk_fma_f16 v39, v68, s16, v22 op_sel:[0,0,1] op_sel_hi:[1,0,0] neg_lo:[0,0,1] neg_hi:[0,0,1]
	v_add_u32_e32 v22, 0x800, v0
	v_add_u32_e32 v32, 0x1000, v0
	ds_read2_b32 v[24:25], v22 offset0:88 offset1:198
	ds_read2_b32 v[22:23], v32 offset0:26 offset1:136
	v_bfi_b32 v27, s14, v38, v39
	s_mov_b32 s20, 0xba0c
	v_pk_add_f16 v40, v27, v26
	s_mov_b32 s19, 0xb93d
	s_waitcnt lgkmcnt(0)
	v_pk_add_f16 v71, v24, v22 neg_lo:[0,1] neg_hi:[0,1]
	v_pk_add_f16 v70, v22, v24
	v_pk_mul_f16 v26, v71, s20 op_sel_hi:[1,0]
	v_pk_fma_f16 v41, v70, s19, v26 op_sel:[0,0,1] op_sel_hi:[1,0,0]
	v_pk_fma_f16 v42, v70, s19, v26 op_sel:[0,0,1] op_sel_hi:[1,0,0] neg_lo:[0,0,1] neg_hi:[0,0,1]
	v_add_u32_e32 v26, 0xc00, v0
	v_add_u32_e32 v33, 0xa00, v0
	ds_read2_b32 v[26:27], v26 offset0:132 offset1:242
	ds_read2_b32 v[28:29], v33 offset0:110 offset1:220
	v_pk_add_f16 v18, v8, v18
	v_pk_add_f16 v10, v18, v10
	;; [unrolled: 1-line block ×4, first 2 shown]
	s_waitcnt lgkmcnt(0)
	v_pk_add_f16 v10, v10, v28
	v_bfi_b32 v43, s14, v41, v42
	s_mov_b32 s22, 0xb482
	v_pk_add_f16 v73, v28, v26 neg_lo:[0,1] neg_hi:[0,1]
	v_pk_add_f16 v10, v10, v26
	v_pk_add_f16 v40, v43, v40
	s_mov_b32 s21, 0xbbad
	v_pk_add_f16 v72, v26, v28
	v_pk_mul_f16 v43, v73, s22 op_sel_hi:[1,0]
	v_pk_add_f16 v10, v10, v22
	v_pk_fma_f16 v44, v72, s21, v43 op_sel:[0,0,1] op_sel_hi:[1,0,0]
	v_pk_fma_f16 v43, v72, s21, v43 op_sel:[0,0,1] op_sel_hi:[1,0,0] neg_lo:[0,0,1] neg_hi:[0,0,1]
	v_pk_add_f16 v10, v10, v20
	v_bfi_b32 v45, s14, v44, v43
	v_pk_add_f16 v10, v10, v16
	v_pk_add_f16 v40, v45, v40
	;; [unrolled: 1-line block ×3, first 2 shown]
	v_mad_u32_u24 v22, v3, 40, v0
	s_barrier
	ds_write2_b32 v22, v10, v40 offset1:1
	v_mul_f16_sdwa v10, v65, s15 dst_sel:DWORD dst_unused:UNUSED_PAD src0_sel:WORD_1 src1_sel:DWORD
	v_fma_f16 v12, v64, s8, v10
	v_mul_f16_sdwa v14, v67, s20 dst_sel:DWORD dst_unused:UNUSED_PAD src0_sel:WORD_1 src1_sel:DWORD
	v_add_f16_e32 v12, v8, v12
	v_fma_f16 v16, v66, s19, v14
	v_add_f16_e32 v12, v16, v12
	s_movk_i32 s25, 0x3b47
	v_mul_f16_sdwa v16, v64, s8 dst_sel:DWORD dst_unused:UNUSED_PAD src0_sel:WORD_1 src1_sel:DWORD
	v_fma_f16 v18, v65, s25, v16
	s_movk_i32 s2, 0x3a0c
	v_mul_f16_sdwa v20, v66, s19 dst_sel:DWORD dst_unused:UNUSED_PAD src0_sel:WORD_1 src1_sel:DWORD
	v_add_f16_sdwa v18, v8, v18 dst_sel:DWORD dst_unused:UNUSED_PAD src0_sel:WORD_1 src1_sel:DWORD
	v_fma_f16 v24, v67, s2, v20
	v_add_f16_e32 v18, v24, v18
	s_movk_i32 s23, 0x3482
	v_mul_f16_sdwa v24, v65, s17 dst_sel:DWORD dst_unused:UNUSED_PAD src0_sel:WORD_1 src1_sel:DWORD
	v_fma_f16 v26, v64, s16, v24
	v_mul_f16_sdwa v28, v67, s23 dst_sel:DWORD dst_unused:UNUSED_PAD src0_sel:WORD_1 src1_sel:DWORD
	v_add_f16_e32 v26, v8, v26
	v_fma_f16 v40, v66, s21, v28
	v_add_f16_e32 v26, v40, v26
	s_movk_i32 s24, 0x3beb
	v_mul_f16_sdwa v40, v64, s16 dst_sel:DWORD dst_unused:UNUSED_PAD src0_sel:WORD_1 src1_sel:DWORD
	v_fma_f16 v45, v65, s24, v40
	v_mul_f16_sdwa v46, v66, s21 dst_sel:DWORD dst_unused:UNUSED_PAD src0_sel:WORD_1 src1_sel:DWORD
	v_add_f16_sdwa v45, v8, v45 dst_sel:DWORD dst_unused:UNUSED_PAD src0_sel:WORD_1 src1_sel:DWORD
	v_fma_f16 v47, v67, s22, v46
	v_add_f16_e32 v45, v47, v45
	v_mul_f16_sdwa v47, v69, s23 dst_sel:DWORD dst_unused:UNUSED_PAD src0_sel:WORD_1 src1_sel:DWORD
	v_fma_f16 v48, v68, s21, v47
	v_add_f16_e32 v12, v48, v12
	v_mul_f16_sdwa v48, v68, s21 dst_sel:DWORD dst_unused:UNUSED_PAD src0_sel:WORD_1 src1_sel:DWORD
	;; [unrolled: 3-line block ×7, first 2 shown]
	v_fma_f16 v54, v70, s9, v53
	v_add_f16_e32 v26, v54, v26
	s_movk_i32 s26, 0x3853
	v_mul_f16_sdwa v54, v70, s9 dst_sel:DWORD dst_unused:UNUSED_PAD src0_sel:WORD_1 src1_sel:DWORD
	v_fma_f16 v55, v71, s26, v54
	v_add_f16_e32 v45, v55, v45
	v_mul_f16_sdwa v55, v73, s26 dst_sel:DWORD dst_unused:UNUSED_PAD src0_sel:WORD_1 src1_sel:DWORD
	v_fma_f16 v56, v72, s9, v55
	v_add_f16_e32 v12, v56, v12
	;; [unrolled: 3-line block ×5, first 2 shown]
	v_pack_b32_f16 v26, v26, v45
	v_pack_b32_f16 v12, v12, v18
	ds_write2_b32 v22, v12, v26 offset0:2 offset1:3
	v_pk_mul_f16 v12, v64, s21 op_sel_hi:[1,0]
	v_pk_fma_f16 v18, v65, s22, v12 op_sel:[0,0,1] op_sel_hi:[1,0,0]
	v_pk_mul_f16 v45, v66, s9 op_sel_hi:[1,0]
	v_pk_fma_f16 v12, v65, s22, v12 op_sel:[0,0,1] op_sel_hi:[1,0,0] neg_lo:[1,0,0] neg_hi:[1,0,0]
	v_alignbit_b32 v26, s0, v8, 16
	v_pk_fma_f16 v59, v67, s26, v45 op_sel:[0,0,1] op_sel_hi:[1,0,0]
	v_pk_add_f16 v12, v8, v12 op_sel:[1,0] op_sel_hi:[0,1]
	v_pk_fma_f16 v45, v67, s26, v45 op_sel:[0,0,1] op_sel_hi:[1,0,0] neg_lo:[1,0,0] neg_hi:[1,0,0]
	v_pk_add_f16 v26, v26, v18
	v_pk_add_f16 v12, v45, v12
	v_pk_mul_f16 v45, v68, s19 op_sel_hi:[1,0]
	v_alignbit_b32 v18, s0, v18, 16
	v_alignbit_b32 v60, s0, v59, 16
	v_pk_add_f16 v26, v59, v26
	v_pk_fma_f16 v59, v69, s20, v45 op_sel:[0,0,1] op_sel_hi:[1,0,0]
	v_pk_fma_f16 v45, v69, s20, v45 op_sel:[0,0,1] op_sel_hi:[1,0,0] neg_lo:[1,0,0] neg_hi:[1,0,0]
	v_pk_add_f16 v18, v8, v18
	v_pk_add_f16 v12, v45, v12
	v_pk_mul_f16 v45, v70, s8 op_sel_hi:[1,0]
	v_pk_add_f16 v18, v60, v18
	v_alignbit_b32 v60, s0, v59, 16
	v_pk_add_f16 v26, v59, v26
	v_pk_fma_f16 v59, v71, s25, v45 op_sel:[0,0,1] op_sel_hi:[1,0,0]
	v_pk_fma_f16 v45, v71, s25, v45 op_sel:[0,0,1] op_sel_hi:[1,0,0] neg_lo:[1,0,0] neg_hi:[1,0,0]
	v_pk_add_f16 v12, v45, v12
	v_pk_mul_f16 v45, v72, s16 op_sel_hi:[1,0]
	v_pk_add_f16 v18, v60, v18
	v_alignbit_b32 v60, s0, v59, 16
	v_pk_add_f16 v26, v59, v26
	v_pk_fma_f16 v59, v73, s17, v45 op_sel:[0,0,1] op_sel_hi:[1,0,0]
	v_pk_add_f16 v18, v60, v18
	v_alignbit_b32 v60, s0, v59, 16
	v_pk_fma_f16 v45, v73, s17, v45 op_sel:[0,0,1] op_sel_hi:[1,0,0] neg_lo:[1,0,0] neg_hi:[1,0,0]
	v_pk_add_f16 v18, v60, v18
	v_pk_add_f16 v12, v45, v12
	;; [unrolled: 1-line block ×3, first 2 shown]
	v_alignbit_b32 v26, v26, v12, 16
	v_pack_b32_f16 v12, v18, v12
	ds_write2_b32 v22, v12, v26 offset0:5 offset1:6
	v_fma_f16 v12, v64, s16, -v24
	v_add_f16_e32 v12, v8, v12
	v_fma_f16 v18, v66, s21, -v28
	v_add_f16_e32 v12, v18, v12
	v_fma_f16 v18, v65, s17, v40
	v_add_f16_sdwa v18, v8, v18 dst_sel:DWORD dst_unused:UNUSED_PAD src0_sel:WORD_1 src1_sel:DWORD
	v_fma_f16 v24, v67, s23, v46
	v_mul_f16_sdwa v74, v65, s20 dst_sel:DWORD dst_unused:UNUSED_PAD src0_sel:WORD_1 src1_sel:DWORD
	v_add_f16_e32 v18, v24, v18
	v_fma_f16 v24, v64, s19, -v74
	v_mul_f16_sdwa v75, v67, s24 dst_sel:DWORD dst_unused:UNUSED_PAD src0_sel:WORD_1 src1_sel:DWORD
	v_add_f16_e32 v24, v8, v24
	v_fma_f16 v26, v66, s16, -v75
	v_mul_f16_sdwa v76, v64, s19 dst_sel:DWORD dst_unused:UNUSED_PAD src0_sel:WORD_1 src1_sel:DWORD
	v_add_f16_e32 v24, v26, v24
	v_fma_f16 v26, v65, s20, v76
	v_mul_f16_sdwa v77, v66, s16 dst_sel:DWORD dst_unused:UNUSED_PAD src0_sel:WORD_1 src1_sel:DWORD
	v_add_f16_sdwa v26, v8, v26 dst_sel:DWORD dst_unused:UNUSED_PAD src0_sel:WORD_1 src1_sel:DWORD
	v_fma_f16 v28, v67, s24, v77
	v_add_f16_e32 v26, v28, v26
	v_fma_f16 v28, v68, s8, -v49
	v_add_f16_e32 v12, v28, v12
	v_fma_f16 v28, v69, s25, v50
	v_mul_f16_sdwa v78, v69, s18 dst_sel:DWORD dst_unused:UNUSED_PAD src0_sel:WORD_1 src1_sel:DWORD
	v_add_f16_e32 v18, v28, v18
	v_fma_f16 v28, v68, s9, -v78
	v_mul_f16_sdwa v79, v68, s9 dst_sel:DWORD dst_unused:UNUSED_PAD src0_sel:WORD_1 src1_sel:DWORD
	v_add_f16_e32 v24, v28, v24
	v_fma_f16 v28, v69, s18, v79
	v_add_f16_e32 v26, v28, v26
	v_fma_f16 v28, v70, s9, -v53
	v_add_f16_e32 v12, v28, v12
	v_fma_f16 v28, v71, s18, v54
	v_mul_f16_sdwa v80, v71, s22 dst_sel:DWORD dst_unused:UNUSED_PAD src0_sel:WORD_1 src1_sel:DWORD
	v_add_f16_e32 v18, v28, v18
	v_fma_f16 v28, v70, s21, -v80
	v_mul_f16_sdwa v81, v70, s21 dst_sel:DWORD dst_unused:UNUSED_PAD src0_sel:WORD_1 src1_sel:DWORD
	v_add_f16_e32 v24, v28, v24
	;; [unrolled: 10-line block ×3, first 2 shown]
	v_fma_f16 v28, v73, s25, v83
	v_add_f16_e32 v26, v28, v26
	v_pack_b32_f16 v12, v12, v18
	v_pack_b32_f16 v18, v24, v26
	v_fma_f16 v10, v64, s8, -v10
	ds_write2_b32 v22, v18, v12 offset0:7 offset1:8
	v_add_f16_e32 v10, v8, v10
	v_fma_f16 v12, v66, s19, -v14
	v_add_f16_e32 v10, v12, v10
	v_fma_f16 v12, v65, s15, v16
	v_add_f16_sdwa v12, v8, v12 dst_sel:DWORD dst_unused:UNUSED_PAD src0_sel:WORD_1 src1_sel:DWORD
	v_fma_f16 v14, v67, s20, v20
	v_add_f16_e32 v12, v14, v12
	v_fma_f16 v14, v68, s21, -v47
	v_add_f16_e32 v10, v14, v10
	v_fma_f16 v14, v69, s23, v48
	v_add_f16_e32 v12, v14, v12
	v_fma_f16 v14, v70, s16, -v51
	v_add_f16_e32 v10, v14, v10
	;; [unrolled: 4-line block ×3, first 2 shown]
	v_fma_f16 v14, v73, s26, v56
	v_add_f16_e32 v12, v14, v12
	v_bfi_b32 v14, s14, v35, v34
	v_bfi_b32 v16, s14, v37, v36
	v_pk_add_f16 v14, v8, v14
	v_pk_add_f16 v14, v16, v14
	v_bfi_b32 v16, s14, v39, v38
	v_pk_add_f16 v14, v16, v14
	v_bfi_b32 v16, s14, v42, v41
	;; [unrolled: 2-line block ×3, first 2 shown]
	v_pk_add_f16 v14, v16, v14
	v_pack_b32_f16 v10, v10, v12
	ds_write2_b32 v22, v10, v14 offset0:9 offset1:10
	v_pk_add_f16 v14, v19, v15 neg_lo:[0,1] neg_hi:[0,1]
	v_pk_add_f16 v10, v15, v19
	v_mul_f16_sdwa v39, v14, s17 dst_sel:DWORD dst_unused:UNUSED_PAD src0_sel:WORD_1 src1_sel:DWORD
	v_fma_f16 v12, v10, s16, v39
	v_pk_add_f16 v16, v11, v17 neg_lo:[0,1] neg_hi:[0,1]
	v_add_f16_e32 v18, v9, v12
	v_pk_add_f16 v12, v17, v11
	v_mul_f16_sdwa v40, v16, s23 dst_sel:DWORD dst_unused:UNUSED_PAD src0_sel:WORD_1 src1_sel:DWORD
	v_fma_f16 v20, v12, s21, v40
	v_lshrrev_b32_e32 v53, 16, v10
	v_mul_f16_e32 v41, 0xbbeb, v14
	v_add_f16_e32 v24, v20, v18
	v_fma_f16 v18, v53, s16, -v41
	v_lshrrev_b32_e32 v54, 16, v12
	v_mul_f16_e32 v42, 0x3482, v16
	v_add_f16_sdwa v18, v9, v18 dst_sel:DWORD dst_unused:UNUSED_PAD src0_sel:WORD_1 src1_sel:DWORD
	v_fma_f16 v20, v54, s21, -v42
	v_mul_f16_sdwa v44, v14, s20 dst_sel:DWORD dst_unused:UNUSED_PAD src0_sel:WORD_1 src1_sel:DWORD
	v_add_f16_e32 v26, v20, v18
	v_fma_f16 v18, v10, s19, v44
	v_mul_f16_sdwa v45, v16, s24 dst_sel:DWORD dst_unused:UNUSED_PAD src0_sel:WORD_1 src1_sel:DWORD
	v_add_f16_e32 v18, v9, v18
	v_fma_f16 v20, v12, s16, v45
	v_mul_f16_e32 v48, 0xba0c, v14
	v_add_f16_e32 v28, v20, v18
	v_fma_f16 v18, v53, s19, -v48
	v_mul_f16_e32 v50, 0x3beb, v16
	v_add_f16_sdwa v18, v9, v18 dst_sel:DWORD dst_unused:UNUSED_PAD src0_sel:WORD_1 src1_sel:DWORD
	v_fma_f16 v20, v54, s16, -v50
	v_add_f16_e32 v34, v20, v18
	v_pk_add_f16 v20, v13, v21 neg_lo:[0,1] neg_hi:[0,1]
	v_pk_add_f16 v18, v21, v13
	v_mul_f16_sdwa v43, v20, s25 dst_sel:DWORD dst_unused:UNUSED_PAD src0_sel:WORD_1 src1_sel:DWORD
	v_fma_f16 v35, v18, s8, v43
	v_lshrrev_b32_e32 v58, 16, v18
	v_mul_f16_e32 v47, 0x3b47, v20
	v_add_f16_e32 v24, v35, v24
	v_fma_f16 v35, v58, s8, -v47
	v_mul_f16_sdwa v51, v20, s18 dst_sel:DWORD dst_unused:UNUSED_PAD src0_sel:WORD_1 src1_sel:DWORD
	v_add_f16_e32 v26, v35, v26
	v_fma_f16 v35, v18, s9, v51
	v_mul_f16_e32 v55, 0xb853, v20
	v_add_f16_e32 v28, v35, v28
	v_fma_f16 v35, v58, s9, -v55
	v_pk_add_f16 v36, v25, v23 neg_lo:[0,1] neg_hi:[0,1]
	v_add_f16_e32 v34, v35, v34
	v_pk_add_f16 v35, v23, v25
	v_mul_f16_sdwa v46, v36, s18 dst_sel:DWORD dst_unused:UNUSED_PAD src0_sel:WORD_1 src1_sel:DWORD
	v_fma_f16 v37, v35, s9, v46
	v_lshrrev_b32_e32 v61, 16, v35
	v_mul_f16_e32 v52, 0xb853, v36
	v_add_f16_e32 v24, v37, v24
	v_fma_f16 v37, v61, s9, -v52
	v_mul_f16_sdwa v56, v36, s22 dst_sel:DWORD dst_unused:UNUSED_PAD src0_sel:WORD_1 src1_sel:DWORD
	v_add_f16_e32 v26, v37, v26
	v_fma_f16 v37, v35, s21, v56
	v_mul_f16_e32 v59, 0xb482, v36
	v_add_f16_e32 v28, v37, v28
	v_fma_f16 v37, v61, s21, -v59
	v_pk_add_f16 v38, v29, v27 neg_lo:[0,1] neg_hi:[0,1]
	v_fma_f16 v64, v64, s19, v74
	v_add_f16_e32 v34, v37, v34
	v_pk_add_f16 v37, v27, v29
	v_mul_f16_sdwa v49, v38, s20 dst_sel:DWORD dst_unused:UNUSED_PAD src0_sel:WORD_1 src1_sel:DWORD
	v_fma_f16 v65, v65, s2, v76
	v_fma_f16 v66, v66, s16, v75
	v_add_f16_e32 v64, v8, v64
	v_fma_f16 v57, v37, s19, v49
	v_add_f16_e32 v64, v66, v64
	v_fma_f16 v66, v67, s17, v77
	v_add_f16_sdwa v8, v8, v65 dst_sel:DWORD dst_unused:UNUSED_PAD src0_sel:WORD_1 src1_sel:DWORD
	v_fma_f16 v65, v68, s9, v78
	v_add_f16_e32 v24, v57, v24
	v_lshrrev_b32_e32 v63, 16, v37
	v_mul_f16_e32 v57, 0xba0c, v38
	v_add_f16_e32 v8, v66, v8
	v_add_f16_e32 v64, v65, v64
	v_fma_f16 v65, v69, s26, v79
	v_fma_f16 v60, v63, s19, -v57
	v_add_f16_e32 v8, v65, v8
	v_fma_f16 v65, v70, s21, v80
	v_add_f16_e32 v26, v60, v26
	v_mul_f16_sdwa v60, v38, s25 dst_sel:DWORD dst_unused:UNUSED_PAD src0_sel:WORD_1 src1_sel:DWORD
	v_add_f16_e32 v64, v65, v64
	v_fma_f16 v65, v71, s23, v81
	v_fma_f16 v62, v37, s8, v60
	v_add_f16_e32 v8, v65, v8
	v_fma_f16 v65, v72, s8, v82
	v_add_f16_e32 v28, v62, v28
	v_mul_f16_e32 v62, 0x3b47, v38
	v_add_f16_e32 v64, v65, v64
	v_fma_f16 v65, v73, s15, v83
	v_fma_f16 v84, v63, s8, -v62
	v_add_f16_e32 v8, v65, v8
	v_add_f16_e32 v34, v84, v34
	v_pack_b32_f16 v8, v64, v8
	v_cmp_gt_u32_e64 s[2:3], 40, v3
	ds_write_b32 v22, v8 offset:16
	s_and_saveexec_b64 s[6:7], s[2:3]
	s_cbranch_execz .LBB0_23
; %bb.22:
	v_pk_add_f16 v19, v9, v19
	v_pk_add_f16 v11, v19, v11
	;; [unrolled: 1-line block ×8, first 2 shown]
	v_pk_mul_f16 v78, v14, s18 op_sel_hi:[1,0]
	v_pk_add_f16 v11, v11, v17
	v_pk_mul_f16 v79, v16, s15 op_sel_hi:[1,0]
	v_pk_add_f16 v11, v11, v15
	v_pk_fma_f16 v13, v10, s9, v78 op_sel:[0,0,1] op_sel_hi:[1,0,0]
	v_pk_fma_f16 v15, v10, s9, v78 op_sel:[0,0,1] op_sel_hi:[1,0,0] neg_lo:[0,0,1] neg_hi:[0,0,1]
	v_mul_f16_e32 v64, 0xb08e, v53
	v_bfi_b32 v17, s14, v13, v15
	v_pk_fma_f16 v19, v12, s8, v79 op_sel:[0,0,1] op_sel_hi:[1,0,0]
	v_pk_fma_f16 v21, v12, s8, v79 op_sel:[0,0,1] op_sel_hi:[1,0,0] neg_lo:[0,0,1] neg_hi:[0,0,1]
	v_mul_f16_e32 v67, 0xbbad, v54
	v_pk_mul_f16 v80, v20, s17 op_sel_hi:[1,0]
	v_add_f16_e32 v41, v41, v64
	v_pk_add_f16 v17, v9, v17
	v_bfi_b32 v23, s14, v19, v21
	v_mul_f16_e32 v8, 0xb08e, v10
	v_mul_f16_e32 v70, 0x36a6, v58
	v_add_f16_sdwa v41, v9, v41 dst_sel:DWORD dst_unused:UNUSED_PAD src0_sel:WORD_1 src1_sel:DWORD
	v_add_f16_e32 v42, v42, v67
	v_pk_add_f16 v17, v23, v17
	v_pk_fma_f16 v23, v18, s16, v80 op_sel:[0,0,1] op_sel_hi:[1,0,0]
	v_pk_fma_f16 v25, v18, s16, v80 op_sel:[0,0,1] op_sel_hi:[1,0,0] neg_lo:[0,0,1] neg_hi:[0,0,1]
	v_mul_f16_e32 v66, 0xbbad, v12
	v_mul_f16_e32 v73, 0x3abb, v61
	v_pk_mul_f16 v81, v36, s20 op_sel_hi:[1,0]
	v_add_f16_e32 v41, v42, v41
	v_add_f16_e32 v42, v47, v70
	v_sub_f16_e32 v8, v8, v39
	v_bfi_b32 v27, s14, v23, v25
	v_mul_f16_e32 v69, 0x36a6, v18
	v_mul_f16_e32 v76, 0xb93d, v63
	v_add_f16_e32 v41, v42, v41
	v_add_f16_e32 v42, v52, v73
	;; [unrolled: 1-line block ×3, first 2 shown]
	v_sub_f16_e32 v39, v66, v40
	v_pk_add_f16 v17, v27, v17
	v_pk_fma_f16 v27, v35, s19, v81 op_sel:[0,0,1] op_sel_hi:[1,0,0]
	v_pk_fma_f16 v29, v35, s19, v81 op_sel:[0,0,1] op_sel_hi:[1,0,0] neg_lo:[0,0,1] neg_hi:[0,0,1]
	v_mul_f16_e32 v65, 0xb93d, v10
	v_mul_f16_e32 v72, 0x3abb, v35
	v_pk_mul_f16 v82, v38, s22 op_sel_hi:[1,0]
	v_add_f16_e32 v41, v42, v41
	v_add_f16_e32 v42, v57, v76
	;; [unrolled: 1-line block ×3, first 2 shown]
	v_sub_f16_e32 v39, v69, v43
	v_bfi_b32 v40, s14, v27, v29
	v_mul_f16_e32 v68, 0xb08e, v12
	v_mul_f16_e32 v75, 0xb93d, v37
	v_sub_f16_e32 v44, v65, v44
	v_add_f16_e32 v41, v42, v41
	v_add_f16_e32 v8, v39, v8
	v_sub_f16_e32 v39, v72, v46
	v_pk_add_f16 v17, v40, v17
	v_pk_fma_f16 v40, v37, s21, v82 op_sel:[0,0,1] op_sel_hi:[1,0,0]
	v_pk_fma_f16 v42, v37, s21, v82 op_sel:[0,0,1] op_sel_hi:[1,0,0] neg_lo:[0,0,1] neg_hi:[0,0,1]
	v_mul_f16_e32 v71, 0x3abb, v18
	v_add_f16_e32 v44, v9, v44
	v_sub_f16_e32 v45, v68, v45
	v_add_f16_e32 v8, v39, v8
	v_sub_f16_e32 v39, v75, v49
	v_bfi_b32 v43, s14, v40, v42
	v_mul_f16_e32 v53, 0xb93d, v53
	v_mul_f16_e32 v74, 0xbbad, v35
	v_add_f16_e32 v44, v45, v44
	v_sub_f16_e32 v45, v71, v51
	v_add_f16_e32 v8, v39, v8
	v_add_u32_e32 v39, 0x12e8, v22
	v_pk_add_f16 v17, v43, v17
	v_mul_f16_e32 v54, 0xb08e, v54
	v_mul_f16_e32 v77, 0x36a6, v37
	v_add_f16_e32 v48, v48, v53
	v_add_f16_e32 v44, v45, v44
	v_sub_f16_e32 v45, v74, v56
	ds_write2_b32 v39, v11, v17 offset1:1
	v_pk_mul_f16 v39, v10, s21 op_sel_hi:[1,0]
	v_mul_f16_e32 v58, 0x3abb, v58
	v_add_f16_sdwa v48, v9, v48 dst_sel:DWORD dst_unused:UNUSED_PAD src0_sel:WORD_1 src1_sel:DWORD
	v_add_f16_e32 v50, v50, v54
	v_add_f16_e32 v44, v45, v44
	v_sub_f16_e32 v45, v77, v60
	v_pk_fma_f16 v43, v14, s22, v39 op_sel:[0,0,1] op_sel_hi:[1,0,0]
	v_pk_mul_f16 v46, v12, s9 op_sel_hi:[1,0]
	v_mul_f16_e32 v61, 0xbbad, v61
	v_add_f16_e32 v48, v50, v48
	v_add_f16_e32 v50, v55, v58
	;; [unrolled: 1-line block ×3, first 2 shown]
	v_alignbit_b32 v45, s0, v43, 16
	v_pk_fma_f16 v47, v16, s26, v46 op_sel:[0,0,1] op_sel_hi:[1,0,0]
	v_mul_f16_e32 v63, 0x36a6, v63
	v_add_f16_e32 v48, v50, v48
	v_add_f16_e32 v50, v59, v61
	v_pk_add_f16 v45, v9, v45
	v_alignbit_b32 v49, s0, v47, 16
	v_add_f16_e32 v48, v50, v48
	v_add_f16_e32 v50, v62, v63
	v_pk_add_f16 v45, v49, v45
	v_pk_mul_f16 v49, v18, s19 op_sel_hi:[1,0]
	v_add_f16_e32 v48, v50, v48
	v_pk_fma_f16 v50, v20, s20, v49 op_sel:[0,0,1] op_sel_hi:[1,0,0]
	v_alignbit_b32 v51, s0, v50, 16
	v_pk_add_f16 v45, v51, v45
	v_pk_mul_f16 v51, v35, s8 op_sel_hi:[1,0]
	v_pk_fma_f16 v52, v36, s25, v51 op_sel:[0,0,1] op_sel_hi:[1,0,0]
	v_alignbit_b32 v53, s0, v52, 16
	v_pk_add_f16 v45, v53, v45
	v_pk_mul_f16 v53, v37, s16 op_sel_hi:[1,0]
	v_pk_fma_f16 v54, v38, s17, v53 op_sel:[0,0,1] op_sel_hi:[1,0,0]
	v_alignbit_b32 v55, s0, v54, 16
	v_pk_add_f16 v45, v55, v45
	v_alignbit_b32 v55, s0, v9, 16
	v_pk_fma_f16 v39, v14, s22, v39 op_sel:[0,0,1] op_sel_hi:[1,0,0] neg_lo:[1,0,0] neg_hi:[1,0,0]
	v_pk_add_f16 v43, v55, v43
	v_pk_add_f16 v39, v9, v39 op_sel:[1,0] op_sel_hi:[0,1]
	v_pk_fma_f16 v46, v16, s26, v46 op_sel:[0,0,1] op_sel_hi:[1,0,0] neg_lo:[1,0,0] neg_hi:[1,0,0]
	v_pk_add_f16 v43, v47, v43
	v_pk_add_f16 v39, v46, v39
	v_pk_fma_f16 v46, v20, s20, v49 op_sel:[0,0,1] op_sel_hi:[1,0,0] neg_lo:[1,0,0] neg_hi:[1,0,0]
	v_pk_add_f16 v43, v50, v43
	v_pk_add_f16 v39, v46, v39
	v_pk_fma_f16 v46, v36, s25, v51 op_sel:[0,0,1] op_sel_hi:[1,0,0] neg_lo:[1,0,0] neg_hi:[1,0,0]
	s_mov_b32 s2, 0x5040100
	v_pk_add_f16 v43, v52, v43
	v_pk_add_f16 v39, v46, v39
	v_pk_fma_f16 v46, v38, s17, v53 op_sel:[0,0,1] op_sel_hi:[1,0,0] neg_lo:[1,0,0] neg_hi:[1,0,0]
	v_perm_b32 v17, v34, v28, s2
	v_pk_add_f16 v43, v54, v43
	v_pk_add_f16 v39, v46, v39
	ds_write_b32 v22, v17 offset:4856
	v_add_u32_e32 v17, 0x12fc, v22
	v_alignbit_b32 v43, v43, v39, 16
	v_pack_b32_f16 v39, v45, v39
	ds_write2_b32 v17, v39, v43 offset1:1
	v_add_u32_e32 v17, 0x1304, v22
	v_pack_b32_f16 v8, v8, v41
	v_pack_b32_f16 v39, v44, v48
	v_pk_mul_f16 v14, v14, s15 op_sel_hi:[1,0]
	ds_write2_b32 v17, v39, v8 offset1:1
	v_pk_fma_f16 v17, v10, s8, v14 op_sel:[0,0,1] op_sel_hi:[1,0,0] neg_lo:[0,0,1] neg_hi:[0,0,1]
	v_pk_mul_f16 v16, v16, s20 op_sel_hi:[1,0]
	v_pk_mul_f16 v20, v20, s23 op_sel_hi:[1,0]
	v_pk_fma_f16 v10, v10, s8, v14 op_sel:[0,0,1] op_sel_hi:[1,0,0]
	v_pk_fma_f16 v39, v12, s19, v16 op_sel:[0,0,1] op_sel_hi:[1,0,0] neg_lo:[0,0,1] neg_hi:[0,0,1]
	v_pk_fma_f16 v41, v18, s21, v20 op_sel:[0,0,1] op_sel_hi:[1,0,0] neg_lo:[0,0,1] neg_hi:[0,0,1]
	v_add_f16_sdwa v45, v9, v17 dst_sel:DWORD dst_unused:UNUSED_PAD src0_sel:WORD_1 src1_sel:WORD_1
	v_pk_fma_f16 v12, v12, s19, v16 op_sel:[0,0,1] op_sel_hi:[1,0,0]
	v_pk_fma_f16 v14, v18, s21, v20 op_sel:[0,0,1] op_sel_hi:[1,0,0]
	v_add_f16_e32 v20, v9, v10
	v_bfi_b32 v10, s14, v17, v10
	v_pk_mul_f16 v36, v36, s24 op_sel_hi:[1,0]
	v_add_f16_sdwa v45, v39, v45 dst_sel:DWORD dst_unused:UNUSED_PAD src0_sel:WORD_1 src1_sel:DWORD
	v_add_f16_e32 v20, v12, v20
	v_pk_add_f16 v10, v9, v10
	v_bfi_b32 v12, s14, v39, v12
	v_pk_fma_f16 v43, v35, s16, v36 op_sel:[0,0,1] op_sel_hi:[1,0,0] neg_lo:[0,0,1] neg_hi:[0,0,1]
	v_pk_mul_f16 v38, v38, s26 op_sel_hi:[1,0]
	v_add_f16_sdwa v45, v41, v45 dst_sel:DWORD dst_unused:UNUSED_PAD src0_sel:WORD_1 src1_sel:DWORD
	v_pk_fma_f16 v16, v35, s16, v36 op_sel:[0,0,1] op_sel_hi:[1,0,0]
	v_add_f16_e32 v20, v14, v20
	v_pk_add_f16 v10, v12, v10
	v_bfi_b32 v12, s14, v41, v14
	v_pk_fma_f16 v44, v37, s9, v38 op_sel:[0,0,1] op_sel_hi:[1,0,0] neg_lo:[0,0,1] neg_hi:[0,0,1]
	v_add_f16_sdwa v45, v43, v45 dst_sel:DWORD dst_unused:UNUSED_PAD src0_sel:WORD_1 src1_sel:DWORD
	v_pk_fma_f16 v18, v37, s9, v38 op_sel:[0,0,1] op_sel_hi:[1,0,0]
	v_add_f16_e32 v20, v16, v20
	v_pk_add_f16 v10, v12, v10
	v_bfi_b32 v12, s14, v43, v16
	v_add_f16_sdwa v45, v44, v45 dst_sel:DWORD dst_unused:UNUSED_PAD src0_sel:WORD_1 src1_sel:DWORD
	v_add_f16_e32 v20, v18, v20
	v_pk_add_f16 v10, v12, v10
	v_bfi_b32 v12, s14, v44, v18
	v_add_u32_e32 v11, 0x12f0, v22
	v_pk_add_f16 v10, v12, v10
	v_pack_b32_f16 v12, v20, v45
	v_perm_b32 v14, v26, v24, s2
	ds_write2_b32 v11, v12, v14 offset1:1
	v_bfi_b32 v11, s14, v15, v13
	v_pk_add_f16 v9, v9, v11
	v_bfi_b32 v11, s14, v21, v19
	v_pk_add_f16 v9, v11, v9
	;; [unrolled: 2-line block ×4, first 2 shown]
	v_bfi_b32 v11, s14, v42, v40
	v_add_u32_e32 v8, 0x130c, v22
	v_pk_add_f16 v9, v11, v9
	ds_write2_b32 v8, v10, v9 offset1:1
.LBB0_23:
	s_or_b64 exec, exec, s[6:7]
	v_add_u32_e32 v12, 0xe00, v0
	s_waitcnt lgkmcnt(0)
	s_barrier
	ds_read2_b32 v[8:9], v0 offset1:110
	ds_read2_b32 v[10:11], v33 offset0:20 offset1:185
	ds_read2_b32 v[12:13], v12 offset0:39 offset1:149
	;; [unrolled: 1-line block ×6, first 2 shown]
	s_and_saveexec_b64 s[2:3], vcc
	s_cbranch_execz .LBB0_25
; %bb.24:
	s_movk_i32 s6, 0xffd8
	v_mad_i32_i24 v4, v3, s6, v22
	ds_read_b32 v24, v4 offset:3080
	ds_read_b32 v28, v0 offset:6380
	s_waitcnt lgkmcnt(1)
	v_lshrrev_b32_e32 v26, 16, v24
	s_waitcnt lgkmcnt(0)
	v_lshrrev_b32_e32 v34, 16, v28
.LBB0_25:
	s_or_b64 exec, exec, s[2:3]
	v_add_u32_e32 v23, 0x226, v3
	s_mov_b32 s6, 0xba2f
	v_mul_u32_u24_sdwa v33, v23, s6 dst_sel:DWORD dst_unused:UNUSED_PAD src0_sel:WORD_0 src1_sel:DWORD
	v_lshrrev_b32_e32 v33, 19, v33
	v_add_u32_e32 v30, 0x294, v3
	v_mul_lo_u16_e32 v35, 11, v33
	s_movk_i32 s2, 0x75
	v_sub_u16_e32 v23, v23, v35
	v_mul_u32_u24_sdwa v35, v30, s6 dst_sel:DWORD dst_unused:UNUSED_PAD src0_sel:WORD_0 src1_sel:DWORD
	v_mul_lo_u16_sdwa v42, v3, s2 dst_sel:DWORD dst_unused:UNUSED_PAD src0_sel:BYTE_0 src1_sel:DWORD
	v_lshrrev_b32_e32 v35, 19, v35
	v_lshlrev_b32_e32 v37, 2, v23
	v_sub_u16_sdwa v23, v3, v42 dst_sel:DWORD dst_unused:UNUSED_PAD src0_sel:DWORD src1_sel:BYTE_1
	v_add_u32_e32 v22, 0x6e, v3
	v_mul_lo_u16_e32 v36, 11, v35
	v_lshrrev_b16_e32 v23, 1, v23
	v_sub_u16_e32 v30, v30, v36
	v_and_b32_e32 v43, 0x7f, v23
	v_mul_lo_u16_sdwa v23, v22, s2 dst_sel:DWORD dst_unused:UNUSED_PAD src0_sel:BYTE_0 src1_sel:DWORD
	v_add_u32_e32 v25, 0x1b8, v3
	v_lshlrev_b32_e32 v38, 2, v30
	v_sub_u16_sdwa v30, v22, v23 dst_sel:DWORD dst_unused:UNUSED_PAD src0_sel:DWORD src1_sel:BYTE_1
	v_mul_u32_u24_sdwa v29, v25, s6 dst_sel:DWORD dst_unused:UNUSED_PAD src0_sel:WORD_0 src1_sel:DWORD
	v_lshrrev_b16_e32 v30, 1, v30
	v_add_u32_e32 v27, 0x14a, v3
	v_lshrrev_b32_e32 v32, 19, v29
	v_and_b32_e32 v30, 0x7f, v30
	v_mul_lo_u16_e32 v31, 11, v32
	v_add_u16_sdwa v23, v30, v23 dst_sel:DWORD dst_unused:UNUSED_PAD src0_sel:DWORD src1_sel:BYTE_1
	v_mul_u32_u24_sdwa v30, v27, s6 dst_sel:DWORD dst_unused:UNUSED_PAD src0_sel:WORD_0 src1_sel:DWORD
	v_sub_u16_e32 v31, v25, v31
	v_lshrrev_b32_e32 v44, 19, v30
	v_lshlrev_b32_e32 v36, 2, v31
	v_mul_lo_u16_e32 v31, 11, v44
	v_add_u32_e32 v4, 0xdc, v3
	v_sub_u16_e32 v31, v27, v31
	v_lshlrev_b32_e32 v45, 2, v31
	v_mul_u32_u24_sdwa v31, v4, s6 dst_sel:DWORD dst_unused:UNUSED_PAD src0_sel:WORD_0 src1_sel:DWORD
	v_lshrrev_b32_e32 v47, 19, v31
	v_mul_lo_u16_e32 v48, 11, v47
	v_lshrrev_b16_e32 v50, 3, v23
	v_add_u16_sdwa v42, v43, v42 dst_sel:DWORD dst_unused:UNUSED_PAD src0_sel:DWORD src1_sel:BYTE_1
	global_load_dword v39, v38, s[12:13]
	global_load_dword v40, v37, s[12:13]
	;; [unrolled: 1-line block ×3, first 2 shown]
	v_sub_u16_e32 v48, v4, v48
	v_mul_lo_u16_e32 v23, 11, v50
	v_lshrrev_b16_e32 v42, 3, v42
	global_load_dword v46, v45, s[12:13]
	v_lshlrev_b32_e32 v48, 2, v48
	global_load_dword v49, v48, s[12:13]
	v_sub_u16_e32 v51, v22, v23
	v_mov_b32_e32 v23, 2
	v_mul_lo_u16_e32 v43, 11, v42
	v_lshlrev_b32_sdwa v51, v23, v51 dst_sel:DWORD dst_unused:UNUSED_PAD src0_sel:DWORD src1_sel:BYTE_0
	global_load_dword v52, v51, s[12:13]
	v_sub_u16_e32 v43, v3, v43
	v_lshlrev_b32_sdwa v43, v23, v43 dst_sel:DWORD dst_unused:UNUSED_PAD src0_sel:DWORD src1_sel:BYTE_0
	global_load_dword v53, v43, s[12:13]
	v_mul_u32_u24_e32 v32, 0x58, v32
	v_mul_u32_u24_e32 v35, 0x58, v35
	;; [unrolled: 1-line block ×3, first 2 shown]
	v_add3_u32 v32, 0, v32, v36
	v_add3_u32 v35, 0, v35, v38
	v_mul_u32_u24_e32 v36, 0x58, v42
	s_mov_b32 s2, 0xffff
	v_add3_u32 v44, 0, v44, v45
	v_add3_u32 v36, 0, v36, v43
	v_mul_u32_u24_e32 v33, 0x58, v33
	v_mul_u32_u24_e32 v47, 0x58, v47
	v_add3_u32 v33, 0, v33, v37
	v_mul_u32_u24_e32 v37, 0x58, v50
	v_add3_u32 v47, 0, v47, v48
	v_add3_u32 v37, 0, v37, v51
	s_waitcnt vmcnt(0) lgkmcnt(0)
	s_barrier
	v_pk_mul_f16 v38, v39, v21 op_sel:[0,1]
	v_pk_mul_f16 v42, v40, v20 op_sel:[0,1]
	;; [unrolled: 1-line block ×3, first 2 shown]
	v_pk_fma_f16 v45, v39, v21, v38 op_sel:[0,0,1] op_sel_hi:[1,1,0]
	v_pk_fma_f16 v21, v39, v21, v38 op_sel:[0,0,1] op_sel_hi:[1,0,0] neg_lo:[1,0,0] neg_hi:[1,0,0]
	v_pk_fma_f16 v38, v40, v20, v42 op_sel:[0,0,1] op_sel_hi:[1,1,0]
	v_pk_fma_f16 v20, v40, v20, v42 op_sel:[0,0,1] op_sel_hi:[1,0,0] neg_lo:[1,0,0] neg_hi:[1,0,0]
	;; [unrolled: 2-line block ×3, first 2 shown]
	v_bfi_b32 v20, s2, v38, v20
	v_pk_mul_f16 v38, v46, v16 op_sel:[0,1]
	v_bfi_b32 v17, s2, v39, v17
	v_pk_fma_f16 v39, v46, v16, v38 op_sel:[0,0,1] op_sel_hi:[1,1,0]
	v_pk_fma_f16 v16, v46, v16, v38 op_sel:[0,0,1] op_sel_hi:[1,0,0] neg_lo:[1,0,0] neg_hi:[1,0,0]
	v_pk_mul_f16 v38, v49, v13 op_sel:[0,1]
	v_bfi_b32 v16, s2, v39, v16
	v_pk_fma_f16 v39, v49, v13, v38 op_sel:[0,0,1] op_sel_hi:[1,1,0]
	v_pk_fma_f16 v13, v49, v13, v38 op_sel:[0,0,1] op_sel_hi:[1,0,0] neg_lo:[1,0,0] neg_hi:[1,0,0]
	;; [unrolled: 4-line block ×4, first 2 shown]
	v_bfi_b32 v11, s2, v39, v11
	v_bfi_b32 v21, s2, v45, v21
	v_pk_add_f16 v11, v8, v11 neg_lo:[0,1] neg_hi:[0,1]
	v_pk_add_f16 v21, v10, v21 neg_lo:[0,1] neg_hi:[0,1]
	;; [unrolled: 1-line block ×7, first 2 shown]
	v_pk_fma_f16 v8, v8, 2.0, v11 op_sel_hi:[1,0,1] neg_lo:[0,0,1] neg_hi:[0,0,1]
	v_pk_fma_f16 v10, v10, 2.0, v21 op_sel_hi:[1,0,1] neg_lo:[0,0,1] neg_hi:[0,0,1]
	;; [unrolled: 1-line block ×7, first 2 shown]
	ds_write2_b32 v36, v8, v11 offset1:11
	ds_write2_b32 v37, v9, v12 offset1:11
	;; [unrolled: 1-line block ×7, first 2 shown]
	s_and_saveexec_b64 s[2:3], vcc
	s_cbranch_execz .LBB0_27
; %bb.26:
	v_add_u32_e32 v8, 0x302, v3
	v_mul_u32_u24_sdwa v9, v8, s6 dst_sel:DWORD dst_unused:UNUSED_PAD src0_sel:WORD_0 src1_sel:DWORD
	v_lshrrev_b32_e32 v9, 19, v9
	v_mul_lo_u16_e32 v10, 11, v9
	v_sub_u16_e32 v8, v8, v10
	v_lshlrev_b32_e32 v8, 2, v8
	global_load_dword v10, v8, s[12:13]
	v_mul_lo_u16_e32 v9, 22, v9
	v_lshlrev_b32_e32 v9, 2, v9
	v_add3_u32 v8, 0, v8, v9
	s_waitcnt vmcnt(0)
	v_mul_f16_sdwa v9, v34, v10 dst_sel:DWORD dst_unused:UNUSED_PAD src0_sel:DWORD src1_sel:WORD_1
	v_mul_f16_sdwa v11, v28, v10 dst_sel:DWORD dst_unused:UNUSED_PAD src0_sel:DWORD src1_sel:WORD_1
	v_fma_f16 v9, v28, v10, v9
	v_fma_f16 v10, v34, v10, -v11
	v_sub_f16_e32 v9, v24, v9
	v_sub_f16_e32 v10, v26, v10
	v_fma_f16 v11, v24, 2.0, -v9
	v_fma_f16 v12, v26, 2.0, -v10
	v_pack_b32_f16 v11, v11, v12
	v_pack_b32_f16 v9, v9, v10
	ds_write2_b32 v8, v11, v9 offset1:11
.LBB0_27:
	s_or_b64 exec, exec, s[2:3]
	v_lshrrev_b16_e32 v8, 1, v3
	v_mov_b32_e32 v9, 1
	v_and_b32_e32 v8, 0x7f, v8
	v_lshrrev_b16_sdwa v9, v9, v22 dst_sel:DWORD dst_unused:UNUSED_PAD src0_sel:DWORD src1_sel:BYTE_0
	v_mul_lo_u16_e32 v8, 0xbb, v8
	v_mul_lo_u16_e32 v9, 0xbb, v9
	v_lshrrev_b16_e32 v40, 11, v8
	v_lshrrev_b16_e32 v42, 11, v9
	v_mul_lo_u16_e32 v8, 22, v40
	v_mul_lo_u16_e32 v9, 22, v42
	v_lshrrev_b32_e32 v44, 20, v31
	v_sub_u16_e32 v41, v3, v8
	v_mov_b32_e32 v10, 3
	v_sub_u16_e32 v43, v22, v9
	v_mul_lo_u16_e32 v11, 22, v44
	v_lshlrev_b32_sdwa v8, v10, v41 dst_sel:DWORD dst_unused:UNUSED_PAD src0_sel:DWORD src1_sel:BYTE_0
	v_lshlrev_b32_sdwa v10, v10, v43 dst_sel:DWORD dst_unused:UNUSED_PAD src0_sel:DWORD src1_sel:BYTE_0
	v_sub_u16_e32 v45, v4, v11
	s_waitcnt lgkmcnt(0)
	s_barrier
	global_load_dwordx2 v[8:9], v8, s[12:13] offset:44
	v_lshrrev_b32_e32 v46, 20, v30
	global_load_dwordx2 v[16:17], v10, s[12:13] offset:44
	v_lshlrev_b32_e32 v10, 3, v45
	global_load_dwordx2 v[18:19], v10, s[12:13] offset:44
	v_mul_lo_u16_e32 v10, 22, v46
	v_sub_u16_e32 v47, v27, v10
	v_lshlrev_b32_e32 v10, 3, v47
	global_load_dwordx2 v[20:21], v10, s[12:13] offset:44
	v_lshrrev_b32_e32 v48, 20, v29
	v_mul_lo_u16_e32 v10, 22, v48
	v_sub_u16_e32 v49, v25, v10
	v_lshlrev_b32_e32 v10, 3, v49
	global_load_dwordx2 v[24:25], v10, s[12:13] offset:44
	ds_read2_b32 v[26:27], v0 offset1:110
	v_add_u32_e32 v11, 0x600, v0
	v_add_u32_e32 v10, 0x1000, v0
	;; [unrolled: 1-line block ×6, first 2 shown]
	ds_read_b32 v50, v0 offset:6160
	ds_read2_b32 v[28:29], v11 offset0:56 offset1:166
	ds_read2_b32 v[30:31], v10 offset0:76 offset1:186
	;; [unrolled: 1-line block ×6, first 2 shown]
	s_waitcnt lgkmcnt(6)
	v_lshrrev_b32_e32 v53, 16, v50
	s_waitcnt lgkmcnt(3)
	v_lshrrev_b32_e32 v55, 16, v33
	v_lshrrev_b32_e32 v62, 16, v29
	s_waitcnt lgkmcnt(1)
	v_lshrrev_b32_e32 v59, 16, v37
	s_waitcnt lgkmcnt(0)
	v_lshrrev_b32_e32 v58, 16, v38
	v_lshrrev_b32_e32 v61, 16, v39
	;; [unrolled: 1-line block ×7, first 2 shown]
	s_mov_b32 s2, 0xbaee
	s_movk_i32 s3, 0x3aee
	v_lshrrev_b32_e32 v52, 16, v27
	v_lshrrev_b32_e32 v54, 16, v34
	;; [unrolled: 1-line block ×4, first 2 shown]
	s_waitcnt vmcnt(0)
	s_barrier
	s_movk_i32 s7, 0x3b9c
	s_movk_i32 s8, 0x38b4
	;; [unrolled: 1-line block ×4, first 2 shown]
	v_mul_f16_sdwa v66, v8, v62 dst_sel:DWORD dst_unused:UNUSED_PAD src0_sel:WORD_1 src1_sel:DWORD
	v_mul_f16_sdwa v68, v9, v63 dst_sel:DWORD dst_unused:UNUSED_PAD src0_sel:WORD_1 src1_sel:DWORD
	;; [unrolled: 1-line block ×4, first 2 shown]
	v_mul_f16_sdwa v74, v55, v18 dst_sel:DWORD dst_unused:UNUSED_PAD src0_sel:DWORD src1_sel:WORD_1
	v_mul_f16_sdwa v75, v33, v18 dst_sel:DWORD dst_unused:UNUSED_PAD src0_sel:DWORD src1_sel:WORD_1
	v_fma_f16 v33, v33, v18, v74
	v_fma_f16 v18, v55, v18, -v75
	v_mul_f16_sdwa v78, v58, v20 dst_sel:DWORD dst_unused:UNUSED_PAD src0_sel:DWORD src1_sel:WORD_1
	v_fma_f16 v55, v38, v20, v78
	v_mul_f16_sdwa v38, v38, v20 dst_sel:DWORD dst_unused:UNUSED_PAD src0_sel:DWORD src1_sel:WORD_1
	v_fma_f16 v20, v58, v20, -v38
	v_mul_f16_sdwa v38, v59, v21 dst_sel:DWORD dst_unused:UNUSED_PAD src0_sel:DWORD src1_sel:WORD_1
	v_fma_f16 v38, v37, v21, v38
	v_mul_f16_sdwa v37, v37, v21 dst_sel:DWORD dst_unused:UNUSED_PAD src0_sel:DWORD src1_sel:WORD_1
	v_fma_f16 v21, v59, v21, -v37
	v_mul_f16_sdwa v37, v61, v24 dst_sel:DWORD dst_unused:UNUSED_PAD src0_sel:DWORD src1_sel:WORD_1
	v_fma_f16 v37, v39, v24, v37
	v_mul_f16_sdwa v39, v39, v24 dst_sel:DWORD dst_unused:UNUSED_PAD src0_sel:DWORD src1_sel:WORD_1
	v_fma_f16 v24, v61, v24, -v39
	v_mul_f16_sdwa v39, v53, v25 dst_sel:DWORD dst_unused:UNUSED_PAD src0_sel:DWORD src1_sel:WORD_1
	v_fma_f16 v29, v8, v29, v66
	v_fma_f16 v30, v9, v30, v68
	v_fma_f16 v39, v50, v25, v39
	v_mul_f16_sdwa v50, v50, v25 dst_sel:DWORD dst_unused:UNUSED_PAD src0_sel:DWORD src1_sel:WORD_1
	v_fma_f16 v8, v8, v62, -v67
	v_fma_f16 v9, v9, v63, -v69
	;; [unrolled: 1-line block ×3, first 2 shown]
	v_add_f16_e32 v53, v29, v30
	v_mul_f16_sdwa v70, v16, v64 dst_sel:DWORD dst_unused:UNUSED_PAD src0_sel:WORD_1 src1_sel:DWORD
	v_mul_f16_sdwa v72, v17, v65 dst_sel:DWORD dst_unused:UNUSED_PAD src0_sel:WORD_1 src1_sel:DWORD
	v_mul_f16_sdwa v76, v56, v19 dst_sel:DWORD dst_unused:UNUSED_PAD src0_sel:DWORD src1_sel:WORD_1
	v_mul_f16_sdwa v77, v36, v19 dst_sel:DWORD dst_unused:UNUSED_PAD src0_sel:DWORD src1_sel:WORD_1
	v_add_f16_e32 v50, v26, v29
	v_fma_f16 v26, v53, -0.5, v26
	v_sub_f16_e32 v53, v8, v9
	v_mul_f16_sdwa v71, v16, v32 dst_sel:DWORD dst_unused:UNUSED_PAD src0_sel:WORD_1 src1_sel:DWORD
	v_mul_f16_sdwa v73, v17, v31 dst_sel:DWORD dst_unused:UNUSED_PAD src0_sel:WORD_1 src1_sel:DWORD
	v_fma_f16 v32, v16, v32, v70
	v_fma_f16 v31, v17, v31, v72
	;; [unrolled: 1-line block ×3, first 2 shown]
	v_fma_f16 v19, v56, v19, -v77
	v_fma_f16 v56, v53, s2, v26
	v_fma_f16 v26, v53, s3, v26
	v_add_f16_e32 v53, v51, v8
	v_add_f16_e32 v8, v8, v9
	v_fma_f16 v16, v16, v64, -v71
	v_fma_f16 v17, v17, v65, -v73
	v_add_f16_e32 v50, v50, v30
	v_add_f16_e32 v53, v53, v9
	v_fma_f16 v8, v8, -0.5, v51
	v_sub_f16_e32 v9, v29, v30
	v_add_f16_e32 v30, v32, v31
	v_fma_f16 v29, v9, s3, v8
	v_fma_f16 v8, v9, s2, v8
	v_add_f16_e32 v9, v27, v32
	v_fma_f16 v27, v30, -0.5, v27
	v_sub_f16_e32 v30, v16, v17
	v_fma_f16 v51, v30, s2, v27
	v_fma_f16 v27, v30, s3, v27
	v_add_f16_e32 v30, v52, v16
	v_add_f16_e32 v16, v16, v17
	;; [unrolled: 1-line block ×3, first 2 shown]
	v_fma_f16 v16, v16, -0.5, v52
	v_sub_f16_e32 v17, v32, v31
	v_add_f16_e32 v32, v33, v36
	v_add_f16_e32 v9, v9, v31
	v_fma_f16 v31, v17, s3, v16
	v_fma_f16 v16, v17, s2, v16
	v_add_f16_e32 v17, v34, v33
	v_fma_f16 v32, v32, -0.5, v34
	v_sub_f16_e32 v34, v18, v19
	v_fma_f16 v52, v34, s2, v32
	v_fma_f16 v32, v34, s3, v32
	v_add_f16_e32 v34, v54, v18
	v_add_f16_e32 v18, v18, v19
	;; [unrolled: 1-line block ×4, first 2 shown]
	v_fma_f16 v18, v18, -0.5, v54
	v_sub_f16_e32 v19, v33, v36
	v_add_f16_e32 v36, v55, v38
	v_fma_f16 v33, v19, s3, v18
	v_fma_f16 v18, v19, s2, v18
	v_add_f16_e32 v19, v35, v55
	v_fma_f16 v35, v36, -0.5, v35
	v_sub_f16_e32 v36, v20, v21
	v_fma_f16 v54, v36, s2, v35
	v_fma_f16 v35, v36, s3, v35
	v_add_f16_e32 v36, v57, v20
	v_add_f16_e32 v20, v20, v21
	;; [unrolled: 1-line block ×3, first 2 shown]
	v_fma_f16 v20, v20, -0.5, v57
	v_sub_f16_e32 v21, v55, v38
	v_add_f16_e32 v55, v37, v39
	v_add_f16_e32 v19, v19, v38
	v_fma_f16 v38, v21, s3, v20
	v_fma_f16 v20, v21, s2, v20
	v_add_f16_e32 v21, v28, v37
	v_fma_f16 v28, v55, -0.5, v28
	v_sub_f16_e32 v55, v24, v25
	v_fma_f16 v57, v55, s2, v28
	v_fma_f16 v28, v55, s3, v28
	v_add_f16_e32 v55, v60, v24
	v_add_f16_e32 v24, v24, v25
	;; [unrolled: 1-line block ×3, first 2 shown]
	v_fma_f16 v24, v24, -0.5, v60
	v_sub_f16_e32 v25, v37, v39
	v_add_f16_e32 v21, v21, v39
	v_fma_f16 v37, v25, s3, v24
	v_fma_f16 v24, v25, s2, v24
	v_mul_u32_u24_e32 v25, 0x108, v40
	v_lshlrev_b32_sdwa v39, v23, v41 dst_sel:DWORD dst_unused:UNUSED_PAD src0_sel:DWORD src1_sel:BYTE_0
	v_add3_u32 v25, 0, v25, v39
	v_pack_b32_f16 v39, v50, v53
	v_pack_b32_f16 v29, v56, v29
	;; [unrolled: 1-line block ×3, first 2 shown]
	ds_write2_b32 v25, v39, v29 offset1:22
	ds_write_b32 v25, v8 offset:176
	v_mul_u32_u24_e32 v8, 0x108, v42
	v_lshlrev_b32_sdwa v25, v23, v43 dst_sel:DWORD dst_unused:UNUSED_PAD src0_sel:DWORD src1_sel:BYTE_0
	v_add3_u32 v8, 0, v8, v25
	v_pack_b32_f16 v9, v9, v30
	v_pack_b32_f16 v25, v51, v31
	ds_write2_b32 v8, v9, v25 offset1:22
	v_pack_b32_f16 v9, v27, v16
	ds_write_b32 v8, v9 offset:176
	v_mul_u32_u24_e32 v8, 0x108, v44
	v_lshlrev_b32_e32 v9, 2, v45
	v_add3_u32 v8, 0, v8, v9
	v_pack_b32_f16 v9, v17, v34
	v_pack_b32_f16 v16, v52, v33
	ds_write2_b32 v8, v9, v16 offset1:22
	v_pack_b32_f16 v9, v32, v18
	ds_write_b32 v8, v9 offset:176
	v_mul_u32_u24_e32 v8, 0x108, v46
	v_lshlrev_b32_e32 v9, 2, v47
	;; [unrolled: 8-line block ×3, first 2 shown]
	v_add3_u32 v8, 0, v8, v9
	v_pack_b32_f16 v9, v21, v55
	v_pack_b32_f16 v16, v57, v37
	ds_write2_b32 v8, v9, v16 offset1:22
	v_pack_b32_f16 v9, v28, v24
	s_movk_i32 s2, 0x42
	ds_write_b32 v8, v9 offset:176
	v_add_u32_e32 v8, 0xffffffbe, v3
	v_cmp_gt_u32_e32 vcc, s2, v3
	v_cndmask_b32_e32 v8, v8, v3, vcc
	v_lshlrev_b32_e32 v8, 2, v8
	v_mov_b32_e32 v9, 0
	v_lshlrev_b64 v[16:17], 2, v[8:9]
	v_mov_b32_e32 v44, s13
	v_add_co_u32_e32 v16, vcc, s12, v16
	v_addc_co_u32_e32 v17, vcc, v44, v17, vcc
	s_waitcnt lgkmcnt(0)
	s_barrier
	global_load_dwordx4 v[16:19], v[16:17], off offset:220
	s_movk_i32 s2, 0xf9
	v_mul_lo_u16_sdwa v20, v22, s2 dst_sel:DWORD dst_unused:UNUSED_PAD src0_sel:BYTE_0 src1_sel:DWORD
	v_lshrrev_b16_e32 v45, 14, v20
	v_mul_lo_u16_e32 v20, 0x42, v45
	v_sub_u16_e32 v46, v22, v20
	v_mov_b32_e32 v20, 4
	v_lshlrev_b32_sdwa v20, v20, v46 dst_sel:DWORD dst_unused:UNUSED_PAD src0_sel:DWORD src1_sel:BYTE_0
	global_load_dwordx4 v[24:27], v20, s[12:13] offset:220
	s_mov_b32 s2, 0xf83f
	v_mul_u32_u24_sdwa v20, v4, s2 dst_sel:DWORD dst_unused:UNUSED_PAD src0_sel:WORD_0 src1_sel:DWORD
	v_lshrrev_b32_e32 v47, 22, v20
	v_mul_lo_u16_e32 v20, 0x42, v47
	v_sub_u16_e32 v48, v4, v20
	v_lshlrev_b32_e32 v20, 4, v48
	global_load_dwordx4 v[28:31], v20, s[12:13] offset:220
	ds_read2_b32 v[20:21], v0 offset1:110
	ds_read2_b32 v[32:33], v13 offset0:92 offset1:202
	ds_read2_b32 v[34:35], v15 offset0:20 offset1:130
	;; [unrolled: 1-line block ×5, first 2 shown]
	s_waitcnt lgkmcnt(4)
	v_lshrrev_b32_e32 v61, 16, v33
	ds_read2_b32 v[42:43], v11 offset0:56 offset1:166
	ds_read_u16 v54, v0 offset:1762
	ds_read_b32 v55, v0 offset:6160
	s_waitcnt lgkmcnt(6)
	v_lshrrev_b32_e32 v51, 16, v35
	s_waitcnt lgkmcnt(4)
	v_lshrrev_b32_e32 v52, 16, v38
	v_lshrrev_b32_e32 v58, 16, v36
	s_waitcnt lgkmcnt(2)
	v_lshrrev_b32_e32 v57, 16, v43
	v_lshrrev_b32_e32 v53, 16, v41
	;; [unrolled: 1-line block ×3, first 2 shown]
	s_waitcnt lgkmcnt(0)
	v_lshrrev_b32_e32 v60, 16, v55
	s_mov_b32 s3, 0xbb9c
	v_lshlrev_b32_sdwa v23, v23, v46 dst_sel:DWORD dst_unused:UNUSED_PAD src0_sel:DWORD src1_sel:BYTE_0
	s_mov_b32 s2, 0xb8b4
	v_lshrrev_b32_e32 v49, 16, v20
	v_lshrrev_b32_e32 v50, 16, v21
	;; [unrolled: 1-line block ×3, first 2 shown]
	v_cmp_lt_u32_e32 vcc, s9, v3
	s_waitcnt vmcnt(0)
	s_barrier
	v_mul_f16_sdwa v62, v16, v61 dst_sel:DWORD dst_unused:UNUSED_PAD src0_sel:WORD_1 src1_sel:DWORD
	v_fma_f16 v62, v16, v33, v62
	v_mul_f16_sdwa v33, v16, v33 dst_sel:DWORD dst_unused:UNUSED_PAD src0_sel:WORD_1 src1_sel:DWORD
	v_fma_f16 v16, v16, v61, -v33
	v_lshrrev_b32_e32 v33, 16, v34
	v_mul_f16_sdwa v61, v17, v33 dst_sel:DWORD dst_unused:UNUSED_PAD src0_sel:WORD_1 src1_sel:DWORD
	v_fma_f16 v61, v17, v34, v61
	v_mul_f16_sdwa v34, v17, v34 dst_sel:DWORD dst_unused:UNUSED_PAD src0_sel:WORD_1 src1_sel:DWORD
	v_fma_f16 v17, v17, v33, -v34
	v_lshrrev_b32_e32 v33, 16, v37
	;; [unrolled: 5-line block ×3, first 2 shown]
	v_mul_f16_sdwa v37, v19, v33 dst_sel:DWORD dst_unused:UNUSED_PAD src0_sel:WORD_1 src1_sel:DWORD
	v_fma_f16 v37, v19, v40, v37
	v_mul_f16_sdwa v40, v19, v40 dst_sel:DWORD dst_unused:UNUSED_PAD src0_sel:WORD_1 src1_sel:DWORD
	v_fma_f16 v19, v19, v33, -v40
	v_mul_f16_sdwa v33, v54, v24 dst_sel:DWORD dst_unused:UNUSED_PAD src0_sel:DWORD src1_sel:WORD_1
	v_mul_f16_sdwa v40, v24, v42 dst_sel:DWORD dst_unused:UNUSED_PAD src0_sel:WORD_1 src1_sel:DWORD
	v_fma_f16 v33, v24, v42, v33
	v_fma_f16 v24, v54, v24, -v40
	v_mul_f16_sdwa v40, v51, v25 dst_sel:DWORD dst_unused:UNUSED_PAD src0_sel:DWORD src1_sel:WORD_1
	v_fma_f16 v40, v35, v25, v40
	v_mul_f16_sdwa v35, v35, v25 dst_sel:DWORD dst_unused:UNUSED_PAD src0_sel:DWORD src1_sel:WORD_1
	v_mul_f16_sdwa v42, v57, v28 dst_sel:DWORD dst_unused:UNUSED_PAD src0_sel:DWORD src1_sel:WORD_1
	v_fma_f16 v25, v51, v25, -v35
	v_mul_f16_sdwa v35, v52, v26 dst_sel:DWORD dst_unused:UNUSED_PAD src0_sel:DWORD src1_sel:WORD_1
	v_fma_f16 v42, v43, v28, v42
	v_mul_f16_sdwa v43, v43, v28 dst_sel:DWORD dst_unused:UNUSED_PAD src0_sel:DWORD src1_sel:WORD_1
	v_fma_f16 v35, v38, v26, v35
	v_mul_f16_sdwa v38, v38, v26 dst_sel:DWORD dst_unused:UNUSED_PAD src0_sel:DWORD src1_sel:WORD_1
	v_fma_f16 v28, v57, v28, -v43
	v_mul_f16_sdwa v43, v58, v29 dst_sel:DWORD dst_unused:UNUSED_PAD src0_sel:DWORD src1_sel:WORD_1
	v_fma_f16 v26, v52, v26, -v38
	v_mul_f16_sdwa v38, v53, v27 dst_sel:DWORD dst_unused:UNUSED_PAD src0_sel:DWORD src1_sel:WORD_1
	v_fma_f16 v43, v36, v29, v43
	v_mul_f16_sdwa v36, v36, v29 dst_sel:DWORD dst_unused:UNUSED_PAD src0_sel:DWORD src1_sel:WORD_1
	v_fma_f16 v38, v41, v27, v38
	v_mul_f16_sdwa v41, v41, v27 dst_sel:DWORD dst_unused:UNUSED_PAD src0_sel:DWORD src1_sel:WORD_1
	v_fma_f16 v29, v58, v29, -v36
	v_mul_f16_sdwa v36, v59, v30 dst_sel:DWORD dst_unused:UNUSED_PAD src0_sel:DWORD src1_sel:WORD_1
	v_fma_f16 v27, v53, v27, -v41
	v_lshlrev_b32_e32 v41, 2, v48
	v_fma_f16 v36, v39, v30, v36
	v_mul_f16_sdwa v39, v39, v30 dst_sel:DWORD dst_unused:UNUSED_PAD src0_sel:DWORD src1_sel:WORD_1
	v_add_f16_e32 v48, v61, v34
	v_fma_f16 v30, v59, v30, -v39
	v_mul_f16_sdwa v39, v60, v31 dst_sel:DWORD dst_unused:UNUSED_PAD src0_sel:DWORD src1_sel:WORD_1
	v_fma_f16 v48, v48, -0.5, v20
	v_sub_f16_e32 v51, v16, v19
	v_fma_f16 v39, v55, v31, v39
	v_mul_f16_sdwa v46, v55, v31 dst_sel:DWORD dst_unused:UNUSED_PAD src0_sel:DWORD src1_sel:WORD_1
	v_fma_f16 v52, v51, s3, v48
	v_sub_f16_e32 v53, v17, v18
	v_sub_f16_e32 v54, v62, v61
	;; [unrolled: 1-line block ×3, first 2 shown]
	v_fma_f16 v48, v51, s7, v48
	v_fma_f16 v52, v53, s2, v52
	v_add_f16_e32 v54, v54, v55
	v_fma_f16 v48, v53, s8, v48
	v_fma_f16 v31, v60, v31, -v46
	v_add_f16_e32 v46, v20, v62
	v_fma_f16 v52, v54, s6, v52
	v_fma_f16 v48, v54, s6, v48
	v_add_f16_e32 v54, v62, v37
	v_add_f16_e32 v46, v46, v61
	v_fma_f16 v20, v54, -0.5, v20
	v_add_f16_e32 v46, v46, v34
	v_fma_f16 v54, v53, s7, v20
	v_sub_f16_e32 v55, v61, v62
	v_sub_f16_e32 v57, v34, v37
	v_fma_f16 v20, v53, s3, v20
	v_add_f16_e32 v53, v17, v18
	v_add_f16_e32 v46, v46, v37
	v_fma_f16 v54, v51, s2, v54
	v_add_f16_e32 v55, v55, v57
	v_fma_f16 v20, v51, s8, v20
	v_fma_f16 v53, v53, -0.5, v49
	v_sub_f16_e32 v37, v62, v37
	v_fma_f16 v54, v55, s6, v54
	v_fma_f16 v20, v55, s6, v20
	v_fma_f16 v55, v37, s7, v53
	v_sub_f16_e32 v34, v61, v34
	v_sub_f16_e32 v57, v16, v17
	v_sub_f16_e32 v58, v19, v18
	v_fma_f16 v53, v37, s3, v53
	v_add_f16_e32 v51, v49, v16
	v_fma_f16 v55, v34, s8, v55
	v_add_f16_e32 v57, v57, v58
	;; [unrolled: 2-line block ×3, first 2 shown]
	v_fma_f16 v55, v57, s6, v55
	v_fma_f16 v53, v57, s6, v53
	v_add_f16_e32 v57, v16, v19
	v_add_f16_e32 v51, v51, v18
	v_fma_f16 v49, v57, -0.5, v49
	v_add_f16_e32 v51, v51, v19
	v_fma_f16 v57, v34, s3, v49
	v_sub_f16_e32 v16, v17, v16
	v_sub_f16_e32 v17, v18, v19
	v_add_f16_e32 v19, v40, v35
	v_fma_f16 v57, v37, s8, v57
	v_add_f16_e32 v16, v16, v17
	v_fma_f16 v18, v34, s7, v49
	v_fma_f16 v19, v19, -0.5, v21
	v_sub_f16_e32 v34, v24, v27
	v_fma_f16 v17, v16, s6, v57
	v_fma_f16 v18, v37, s2, v18
	;; [unrolled: 1-line block ×3, first 2 shown]
	v_sub_f16_e32 v49, v25, v26
	v_sub_f16_e32 v57, v33, v40
	;; [unrolled: 1-line block ×3, first 2 shown]
	v_fma_f16 v19, v34, s7, v19
	v_fma_f16 v37, v49, s2, v37
	v_add_f16_e32 v57, v57, v58
	v_fma_f16 v19, v49, s8, v19
	v_fma_f16 v37, v57, s6, v37
	;; [unrolled: 1-line block ×3, first 2 shown]
	v_add_f16_e32 v57, v33, v38
	v_fma_f16 v16, v16, s6, v18
	v_add_f16_e32 v18, v21, v33
	v_fma_f16 v21, v57, -0.5, v21
	v_add_f16_e32 v18, v18, v40
	v_fma_f16 v57, v49, s7, v21
	v_sub_f16_e32 v58, v40, v33
	v_sub_f16_e32 v59, v35, v38
	v_fma_f16 v21, v49, s3, v21
	v_add_f16_e32 v49, v25, v26
	v_add_f16_e32 v18, v18, v35
	v_fma_f16 v57, v34, s2, v57
	v_add_f16_e32 v58, v58, v59
	v_fma_f16 v21, v34, s8, v21
	v_fma_f16 v49, v49, -0.5, v50
	v_sub_f16_e32 v33, v33, v38
	v_add_f16_e32 v18, v18, v38
	v_fma_f16 v57, v58, s6, v57
	v_fma_f16 v21, v58, s6, v21
	;; [unrolled: 1-line block ×3, first 2 shown]
	v_sub_f16_e32 v35, v40, v35
	v_sub_f16_e32 v40, v24, v25
	;; [unrolled: 1-line block ×3, first 2 shown]
	v_fma_f16 v49, v33, s3, v49
	v_add_f16_e32 v34, v50, v24
	v_fma_f16 v38, v35, s8, v38
	v_add_f16_e32 v40, v40, v58
	;; [unrolled: 2-line block ×3, first 2 shown]
	v_fma_f16 v38, v40, s6, v38
	v_fma_f16 v40, v40, s6, v49
	v_add_f16_e32 v49, v24, v27
	v_add_f16_e32 v34, v34, v26
	v_fma_f16 v49, v49, -0.5, v50
	v_add_f16_e32 v34, v34, v27
	v_fma_f16 v50, v35, s3, v49
	v_sub_f16_e32 v24, v25, v24
	v_sub_f16_e32 v25, v26, v27
	v_fma_f16 v26, v35, s7, v49
	v_add_f16_e32 v27, v43, v36
	v_fma_f16 v50, v33, s8, v50
	v_add_f16_e32 v24, v24, v25
	v_fma_f16 v26, v33, s2, v26
	v_fma_f16 v27, v27, -0.5, v32
	v_sub_f16_e32 v33, v28, v31
	v_fma_f16 v25, v24, s6, v50
	v_fma_f16 v35, v33, s3, v27
	v_sub_f16_e32 v49, v29, v30
	v_sub_f16_e32 v50, v42, v43
	;; [unrolled: 1-line block ×3, first 2 shown]
	v_fma_f16 v27, v33, s7, v27
	v_fma_f16 v35, v49, s2, v35
	v_add_f16_e32 v50, v50, v58
	v_fma_f16 v27, v49, s8, v27
	v_fma_f16 v24, v24, s6, v26
	v_add_f16_e32 v26, v32, v42
	;; [unrolled: 3-line block ×3, first 2 shown]
	v_add_f16_e32 v26, v26, v43
	v_fma_f16 v32, v50, -0.5, v32
	v_add_f16_e32 v26, v26, v36
	v_fma_f16 v50, v49, s7, v32
	v_sub_f16_e32 v58, v43, v42
	v_sub_f16_e32 v59, v36, v39
	v_fma_f16 v32, v49, s3, v32
	v_add_f16_e32 v49, v29, v30
	v_add_f16_e32 v26, v26, v39
	v_fma_f16 v50, v33, s2, v50
	v_add_f16_e32 v58, v58, v59
	v_fma_f16 v32, v33, s8, v32
	v_fma_f16 v49, v49, -0.5, v56
	v_sub_f16_e32 v39, v42, v39
	v_fma_f16 v50, v58, s6, v50
	v_fma_f16 v32, v58, s6, v32
	;; [unrolled: 1-line block ×3, first 2 shown]
	v_sub_f16_e32 v36, v43, v36
	v_sub_f16_e32 v43, v28, v29
	;; [unrolled: 1-line block ×3, first 2 shown]
	v_fma_f16 v49, v39, s3, v49
	v_fma_f16 v42, v36, s8, v42
	v_add_f16_e32 v43, v43, v58
	v_fma_f16 v49, v36, s2, v49
	v_add_f16_e32 v33, v56, v28
	v_fma_f16 v42, v43, s6, v42
	v_fma_f16 v43, v43, s6, v49
	v_add_f16_e32 v49, v28, v31
	v_add_f16_e32 v33, v33, v29
	v_fma_f16 v49, v49, -0.5, v56
	v_add_f16_e32 v33, v33, v30
	v_fma_f16 v56, v36, s3, v49
	v_sub_f16_e32 v28, v29, v28
	v_sub_f16_e32 v29, v30, v31
	v_fma_f16 v30, v36, s7, v49
	v_fma_f16 v56, v39, s8, v56
	v_add_f16_e32 v28, v28, v29
	v_fma_f16 v30, v39, s2, v30
	v_fma_f16 v29, v28, s6, v56
	;; [unrolled: 1-line block ×3, first 2 shown]
	v_mov_b32_e32 v30, 0x528
	v_cndmask_b32_e32 v30, 0, v30, vcc
	v_add3_u32 v8, 0, v30, v8
	v_pack_b32_f16 v17, v54, v17
	v_pack_b32_f16 v16, v20, v16
	v_add_f16_e32 v33, v33, v31
	v_pack_b32_f16 v30, v46, v51
	v_pack_b32_f16 v31, v52, v55
	ds_write2_b32 v8, v17, v16 offset0:132 offset1:198
	v_pack_b32_f16 v16, v48, v53
	ds_write2_b32 v8, v30, v31 offset1:66
	ds_write_b32 v8, v16 offset:1056
	v_mul_u32_u24_e32 v8, 0x528, v45
	v_add3_u32 v8, 0, v8, v23
	v_pack_b32_f16 v16, v18, v34
	v_pack_b32_f16 v17, v37, v38
	ds_write2_b32 v8, v16, v17 offset1:66
	v_pack_b32_f16 v16, v57, v25
	v_pack_b32_f16 v17, v21, v24
	ds_write2_b32 v8, v16, v17 offset0:132 offset1:198
	v_pack_b32_f16 v16, v19, v40
	ds_write_b32 v8, v16 offset:1056
	v_mul_u32_u24_e32 v8, 0x528, v47
	v_add3_u32 v8, 0, v8, v41
	v_pack_b32_f16 v16, v26, v33
	v_pack_b32_f16 v17, v35, v42
	ds_write2_b32 v8, v16, v17 offset1:66
	v_pack_b32_f16 v16, v50, v29
	v_pack_b32_f16 v17, v32, v28
	ds_write2_b32 v8, v16, v17 offset0:132 offset1:198
	v_pack_b32_f16 v16, v27, v43
	ds_write_b32 v8, v16 offset:1056
	v_mov_b32_e32 v8, v9
	v_lshlrev_b64 v[7:8], 2, v[7:8]
	s_waitcnt lgkmcnt(0)
	v_add_co_u32_e32 v7, vcc, s12, v7
	v_addc_co_u32_e32 v8, vcc, v44, v8, vcc
	s_barrier
	global_load_dwordx4 v[16:19], v[7:8], off offset:1276
	v_lshlrev_b32_e32 v8, 2, v22
	v_lshlrev_b64 v[7:8], 2, v[8:9]
	v_add_co_u32_e32 v7, vcc, s12, v7
	v_addc_co_u32_e32 v8, vcc, v44, v8, vcc
	global_load_dwordx4 v[20:23], v[7:8], off offset:1276
	v_lshlrev_b32_e32 v8, 2, v4
	v_lshlrev_b64 v[7:8], 2, v[8:9]
	v_add_co_u32_e32 v7, vcc, s12, v7
	v_addc_co_u32_e32 v8, vcc, v44, v8, vcc
	global_load_dwordx4 v[24:27], v[7:8], off offset:1276
	ds_read2_b32 v[7:8], v0 offset1:110
	ds_read2_b32 v[28:29], v13 offset0:92 offset1:202
	ds_read2_b32 v[30:31], v15 offset0:20 offset1:130
	;; [unrolled: 1-line block ×5, first 2 shown]
	s_waitcnt lgkmcnt(4)
	v_lshrrev_b32_e32 v51, 16, v29
	ds_read2_b32 v[38:39], v11 offset0:56 offset1:166
	ds_read_u16 v44, v0 offset:1762
	ds_read_b32 v45, v0 offset:6160
	s_waitcnt lgkmcnt(6)
	v_lshrrev_b32_e32 v41, 16, v31
	s_waitcnt lgkmcnt(4)
	v_lshrrev_b32_e32 v42, 16, v34
	;; [unrolled: 2-line block ×4, first 2 shown]
	v_lshrrev_b32_e32 v48, 16, v32
	v_lshrrev_b32_e32 v49, 16, v35
	s_waitcnt lgkmcnt(0)
	v_lshrrev_b32_e32 v50, 16, v45
	v_lshrrev_b32_e32 v4, 16, v7
	;; [unrolled: 1-line block ×4, first 2 shown]
	s_waitcnt vmcnt(0)
	s_barrier
	v_mul_f16_sdwa v52, v16, v51 dst_sel:DWORD dst_unused:UNUSED_PAD src0_sel:WORD_1 src1_sel:DWORD
	v_fma_f16 v52, v16, v29, v52
	v_mul_f16_sdwa v29, v16, v29 dst_sel:DWORD dst_unused:UNUSED_PAD src0_sel:WORD_1 src1_sel:DWORD
	v_fma_f16 v16, v16, v51, -v29
	v_lshrrev_b32_e32 v29, 16, v30
	v_mul_f16_sdwa v51, v17, v29 dst_sel:DWORD dst_unused:UNUSED_PAD src0_sel:WORD_1 src1_sel:DWORD
	v_fma_f16 v51, v17, v30, v51
	v_mul_f16_sdwa v30, v17, v30 dst_sel:DWORD dst_unused:UNUSED_PAD src0_sel:WORD_1 src1_sel:DWORD
	v_fma_f16 v17, v17, v29, -v30
	v_lshrrev_b32_e32 v29, 16, v33
	;; [unrolled: 5-line block ×3, first 2 shown]
	v_mul_f16_sdwa v33, v19, v29 dst_sel:DWORD dst_unused:UNUSED_PAD src0_sel:WORD_1 src1_sel:DWORD
	v_fma_f16 v33, v19, v36, v33
	v_mul_f16_sdwa v36, v19, v36 dst_sel:DWORD dst_unused:UNUSED_PAD src0_sel:WORD_1 src1_sel:DWORD
	v_fma_f16 v19, v19, v29, -v36
	v_mul_f16_sdwa v29, v44, v20 dst_sel:DWORD dst_unused:UNUSED_PAD src0_sel:DWORD src1_sel:WORD_1
	v_mul_f16_sdwa v36, v20, v38 dst_sel:DWORD dst_unused:UNUSED_PAD src0_sel:WORD_1 src1_sel:DWORD
	v_fma_f16 v29, v20, v38, v29
	v_fma_f16 v20, v44, v20, -v36
	v_mul_f16_sdwa v36, v41, v21 dst_sel:DWORD dst_unused:UNUSED_PAD src0_sel:DWORD src1_sel:WORD_1
	v_fma_f16 v36, v31, v21, v36
	v_mul_f16_sdwa v31, v31, v21 dst_sel:DWORD dst_unused:UNUSED_PAD src0_sel:DWORD src1_sel:WORD_1
	v_fma_f16 v21, v41, v21, -v31
	v_mul_f16_sdwa v31, v42, v22 dst_sel:DWORD dst_unused:UNUSED_PAD src0_sel:DWORD src1_sel:WORD_1
	v_fma_f16 v31, v34, v22, v31
	v_mul_f16_sdwa v34, v34, v22 dst_sel:DWORD dst_unused:UNUSED_PAD src0_sel:DWORD src1_sel:WORD_1
	;; [unrolled: 4-line block ×3, first 2 shown]
	v_fma_f16 v23, v43, v23, -v37
	v_mul_f16_sdwa v37, v47, v24 dst_sel:DWORD dst_unused:UNUSED_PAD src0_sel:DWORD src1_sel:WORD_1
	v_mul_f16_sdwa v38, v39, v24 dst_sel:DWORD dst_unused:UNUSED_PAD src0_sel:DWORD src1_sel:WORD_1
	v_fma_f16 v37, v39, v24, v37
	v_fma_f16 v24, v47, v24, -v38
	v_mul_f16_sdwa v38, v48, v25 dst_sel:DWORD dst_unused:UNUSED_PAD src0_sel:DWORD src1_sel:WORD_1
	v_fma_f16 v38, v32, v25, v38
	v_mul_f16_sdwa v32, v32, v25 dst_sel:DWORD dst_unused:UNUSED_PAD src0_sel:DWORD src1_sel:WORD_1
	v_fma_f16 v25, v48, v25, -v32
	v_mul_f16_sdwa v32, v49, v26 dst_sel:DWORD dst_unused:UNUSED_PAD src0_sel:DWORD src1_sel:WORD_1
	v_fma_f16 v32, v35, v26, v32
	v_mul_f16_sdwa v35, v35, v26 dst_sel:DWORD dst_unused:UNUSED_PAD src0_sel:DWORD src1_sel:WORD_1
	v_add_f16_e32 v41, v51, v30
	v_fma_f16 v26, v49, v26, -v35
	v_mul_f16_sdwa v35, v50, v27 dst_sel:DWORD dst_unused:UNUSED_PAD src0_sel:DWORD src1_sel:WORD_1
	v_fma_f16 v41, v41, -0.5, v7
	v_sub_f16_e32 v42, v16, v19
	v_fma_f16 v35, v45, v27, v35
	v_mul_f16_sdwa v39, v45, v27 dst_sel:DWORD dst_unused:UNUSED_PAD src0_sel:DWORD src1_sel:WORD_1
	v_fma_f16 v43, v42, s3, v41
	v_sub_f16_e32 v44, v17, v18
	v_sub_f16_e32 v45, v52, v51
	;; [unrolled: 1-line block ×3, first 2 shown]
	v_fma_f16 v41, v42, s7, v41
	v_fma_f16 v43, v44, s2, v43
	v_add_f16_e32 v45, v45, v47
	v_fma_f16 v41, v44, s8, v41
	v_fma_f16 v27, v50, v27, -v39
	v_add_f16_e32 v39, v7, v52
	v_fma_f16 v43, v45, s6, v43
	v_fma_f16 v41, v45, s6, v41
	v_add_f16_e32 v45, v52, v33
	v_add_f16_e32 v39, v39, v51
	v_fma_f16 v7, v45, -0.5, v7
	v_add_f16_e32 v39, v39, v30
	v_fma_f16 v45, v44, s7, v7
	v_sub_f16_e32 v47, v51, v52
	v_sub_f16_e32 v48, v30, v33
	v_fma_f16 v7, v44, s3, v7
	v_add_f16_e32 v44, v17, v18
	v_add_f16_e32 v39, v39, v33
	v_fma_f16 v45, v42, s2, v45
	v_add_f16_e32 v47, v47, v48
	v_fma_f16 v7, v42, s8, v7
	v_fma_f16 v44, v44, -0.5, v4
	v_sub_f16_e32 v33, v52, v33
	v_fma_f16 v45, v47, s6, v45
	v_fma_f16 v7, v47, s6, v7
	;; [unrolled: 1-line block ×3, first 2 shown]
	v_sub_f16_e32 v30, v51, v30
	v_sub_f16_e32 v48, v16, v17
	;; [unrolled: 1-line block ×3, first 2 shown]
	v_fma_f16 v44, v33, s3, v44
	v_fma_f16 v47, v30, s8, v47
	v_add_f16_e32 v48, v48, v49
	v_fma_f16 v44, v30, s2, v44
	v_add_f16_e32 v42, v4, v16
	v_fma_f16 v47, v48, s6, v47
	v_fma_f16 v44, v48, s6, v44
	v_add_f16_e32 v48, v16, v19
	v_add_f16_e32 v42, v42, v17
	v_fma_f16 v4, v48, -0.5, v4
	v_add_f16_e32 v42, v42, v18
	v_fma_f16 v48, v30, s3, v4
	v_sub_f16_e32 v16, v17, v16
	v_sub_f16_e32 v17, v18, v19
	v_add_f16_e32 v18, v36, v31
	v_add_f16_e32 v42, v42, v19
	v_fma_f16 v48, v33, s8, v48
	v_add_f16_e32 v16, v16, v17
	v_fma_f16 v4, v30, s7, v4
	v_fma_f16 v18, v18, -0.5, v8
	v_sub_f16_e32 v19, v20, v23
	v_fma_f16 v17, v16, s6, v48
	v_fma_f16 v4, v33, s2, v4
	;; [unrolled: 1-line block ×3, first 2 shown]
	v_sub_f16_e32 v33, v21, v22
	v_sub_f16_e32 v48, v29, v36
	;; [unrolled: 1-line block ×3, first 2 shown]
	v_fma_f16 v18, v19, s7, v18
	v_fma_f16 v30, v33, s2, v30
	v_add_f16_e32 v48, v48, v49
	v_fma_f16 v18, v33, s8, v18
	v_fma_f16 v30, v48, s6, v30
	;; [unrolled: 1-line block ×3, first 2 shown]
	v_add_f16_e32 v48, v29, v34
	v_fma_f16 v4, v16, s6, v4
	v_add_f16_e32 v16, v8, v29
	v_fma_f16 v8, v48, -0.5, v8
	v_add_f16_e32 v16, v16, v36
	v_fma_f16 v48, v33, s7, v8
	v_sub_f16_e32 v49, v36, v29
	v_sub_f16_e32 v50, v31, v34
	v_fma_f16 v8, v33, s3, v8
	v_add_f16_e32 v33, v21, v22
	v_add_f16_e32 v16, v16, v31
	v_fma_f16 v48, v19, s2, v48
	v_add_f16_e32 v49, v49, v50
	v_fma_f16 v8, v19, s8, v8
	v_fma_f16 v33, v33, -0.5, v40
	v_sub_f16_e32 v29, v29, v34
	v_add_f16_e32 v16, v16, v34
	v_fma_f16 v48, v49, s6, v48
	v_fma_f16 v8, v49, s6, v8
	;; [unrolled: 1-line block ×3, first 2 shown]
	v_sub_f16_e32 v31, v36, v31
	v_sub_f16_e32 v36, v20, v21
	;; [unrolled: 1-line block ×3, first 2 shown]
	v_fma_f16 v33, v29, s3, v33
	v_add_f16_e32 v19, v40, v20
	v_fma_f16 v34, v31, s8, v34
	v_add_f16_e32 v36, v36, v49
	;; [unrolled: 2-line block ×3, first 2 shown]
	v_fma_f16 v34, v36, s6, v34
	v_fma_f16 v33, v36, s6, v33
	v_add_f16_e32 v36, v20, v23
	v_add_f16_e32 v19, v19, v22
	v_fma_f16 v36, v36, -0.5, v40
	v_add_f16_e32 v19, v19, v23
	v_fma_f16 v40, v31, s3, v36
	v_sub_f16_e32 v20, v21, v20
	v_sub_f16_e32 v21, v22, v23
	v_fma_f16 v22, v31, s7, v36
	v_add_f16_e32 v23, v38, v32
	v_fma_f16 v40, v29, s8, v40
	v_add_f16_e32 v20, v20, v21
	v_fma_f16 v22, v29, s2, v22
	v_fma_f16 v23, v23, -0.5, v28
	v_sub_f16_e32 v29, v24, v27
	v_fma_f16 v21, v20, s6, v40
	v_fma_f16 v31, v29, s3, v23
	v_sub_f16_e32 v36, v25, v26
	v_sub_f16_e32 v40, v37, v38
	v_sub_f16_e32 v49, v35, v32
	v_fma_f16 v23, v29, s7, v23
	v_fma_f16 v31, v36, s2, v31
	v_add_f16_e32 v40, v40, v49
	v_fma_f16 v23, v36, s8, v23
	v_fma_f16 v20, v20, s6, v22
	v_add_f16_e32 v22, v28, v37
	v_fma_f16 v31, v40, s6, v31
	v_fma_f16 v23, v40, s6, v23
	v_add_f16_e32 v40, v37, v35
	v_add_f16_e32 v22, v22, v38
	v_fma_f16 v28, v40, -0.5, v28
	v_add_f16_e32 v22, v22, v32
	v_fma_f16 v40, v36, s7, v28
	v_sub_f16_e32 v49, v38, v37
	v_sub_f16_e32 v50, v32, v35
	v_fma_f16 v28, v36, s3, v28
	v_add_f16_e32 v36, v25, v26
	v_add_f16_e32 v22, v22, v35
	v_fma_f16 v40, v29, s2, v40
	v_add_f16_e32 v49, v49, v50
	v_fma_f16 v28, v29, s8, v28
	v_fma_f16 v36, v36, -0.5, v46
	v_sub_f16_e32 v35, v37, v35
	v_fma_f16 v40, v49, s6, v40
	v_fma_f16 v28, v49, s6, v28
	;; [unrolled: 1-line block ×3, first 2 shown]
	v_sub_f16_e32 v32, v38, v32
	v_sub_f16_e32 v38, v24, v25
	;; [unrolled: 1-line block ×3, first 2 shown]
	v_fma_f16 v36, v35, s3, v36
	v_fma_f16 v37, v32, s8, v37
	v_add_f16_e32 v38, v38, v49
	v_fma_f16 v36, v32, s2, v36
	v_add_f16_e32 v29, v46, v24
	v_fma_f16 v37, v38, s6, v37
	v_fma_f16 v36, v38, s6, v36
	v_add_f16_e32 v38, v24, v27
	v_add_f16_e32 v29, v29, v25
	v_fma_f16 v38, v38, -0.5, v46
	v_add_f16_e32 v29, v29, v26
	v_fma_f16 v46, v32, s3, v38
	v_sub_f16_e32 v24, v25, v24
	v_sub_f16_e32 v25, v26, v27
	v_fma_f16 v26, v32, s7, v38
	v_pack_b32_f16 v17, v45, v17
	v_pack_b32_f16 v16, v16, v19
	;; [unrolled: 1-line block ×3, first 2 shown]
	v_add_f16_e32 v29, v29, v27
	v_fma_f16 v46, v35, s8, v46
	v_add_f16_e32 v24, v24, v25
	v_fma_f16 v26, v35, s2, v26
	v_pack_b32_f16 v4, v7, v4
	v_pack_b32_f16 v7, v41, v44
	ds_write2_b32 v15, v17, v19 offset0:20 offset1:130
	v_pack_b32_f16 v15, v18, v33
	v_fma_f16 v25, v24, s6, v46
	v_fma_f16 v24, v24, s6, v26
	v_pack_b32_f16 v26, v39, v42
	v_pack_b32_f16 v27, v43, v47
	ds_write2_b32 v14, v7, v15 offset0:40 offset1:150
	v_pack_b32_f16 v7, v22, v29
	ds_write2_b32 v0, v26, v16 offset1:110
	v_pack_b32_f16 v16, v30, v34
	ds_write2_b32 v13, v7, v27 offset0:92 offset1:202
	v_pack_b32_f16 v7, v31, v37
	ds_write2_b32 v11, v16, v7 offset0:56 offset1:166
	v_pack_b32_f16 v7, v40, v25
	v_pack_b32_f16 v8, v8, v20
	ds_write2_b32 v12, v7, v4 offset0:112 offset1:222
	v_pack_b32_f16 v4, v28, v24
	ds_write2_b32 v10, v8, v4 offset0:76 offset1:186
	v_pack_b32_f16 v4, v23, v36
	ds_write_b32 v0, v4 offset:6160
	s_waitcnt lgkmcnt(0)
	s_barrier
	s_and_saveexec_b64 s[2:3], s[0:1]
	s_cbranch_execz .LBB0_29
; %bb.28:
	v_mul_lo_u32 v0, s5, v5
	v_mul_lo_u32 v4, s4, v6
	v_mad_u64_u32 v[5:6], s[0:1], s4, v5, 0
	v_lshl_add_u32 v7, v3, 2, 0
	ds_read2_b32 v[10:11], v7 offset1:110
	v_add3_u32 v6, v6, v4, v0
	v_lshlrev_b64 v[5:6], 2, v[5:6]
	v_mov_b32_e32 v0, s11
	v_add_co_u32_e32 v5, vcc, s10, v5
	v_addc_co_u32_e32 v6, vcc, v0, v6, vcc
	v_lshlrev_b64 v[0:1], 2, v[1:2]
	v_mov_b32_e32 v4, v9
	v_add_co_u32_e32 v2, vcc, v5, v0
	v_addc_co_u32_e32 v6, vcc, v6, v1, vcc
	v_lshlrev_b64 v[0:1], 2, v[3:4]
	v_add_u32_e32 v8, 0x6e, v3
	v_add_co_u32_e32 v0, vcc, v2, v0
	v_addc_co_u32_e32 v1, vcc, v6, v1, vcc
	s_waitcnt lgkmcnt(0)
	global_store_dword v[0:1], v10, off
	v_lshlrev_b64 v[0:1], 2, v[8:9]
	v_add_u32_e32 v8, 0xdc, v3
	v_add_co_u32_e32 v0, vcc, v2, v0
	v_addc_co_u32_e32 v1, vcc, v6, v1, vcc
	global_store_dword v[0:1], v11, off
	v_add_u32_e32 v0, 0x200, v7
	ds_read2_b32 v[0:1], v0 offset0:92 offset1:202
	v_lshlrev_b64 v[4:5], 2, v[8:9]
	v_add_u32_e32 v8, 0x14a, v3
	v_add_co_u32_e32 v4, vcc, v2, v4
	v_addc_co_u32_e32 v5, vcc, v6, v5, vcc
	s_waitcnt lgkmcnt(0)
	global_store_dword v[4:5], v0, off
	v_lshlrev_b64 v[4:5], 2, v[8:9]
	v_add_u32_e32 v0, 0x600, v7
	v_add_co_u32_e32 v4, vcc, v2, v4
	v_addc_co_u32_e32 v5, vcc, v6, v5, vcc
	global_store_dword v[4:5], v1, off
	v_add_u32_e32 v8, 0x1b8, v3
	ds_read2_b32 v[0:1], v0 offset0:56 offset1:166
	;; [unrolled: 13-line block ×6, first 2 shown]
	v_lshlrev_b64 v[4:5], 2, v[8:9]
	v_add_u32_e32 v8, 0x596, v3
	v_add_co_u32_e32 v4, vcc, v2, v4
	v_addc_co_u32_e32 v5, vcc, v6, v5, vcc
	s_waitcnt lgkmcnt(0)
	global_store_dword v[4:5], v0, off
	v_lshlrev_b64 v[4:5], 2, v[8:9]
	v_add_u32_e32 v8, 0x604, v3
	v_add_co_u32_e32 v4, vcc, v2, v4
	v_addc_co_u32_e32 v5, vcc, v6, v5, vcc
	ds_read_b32 v3, v7 offset:6160
	global_store_dword v[4:5], v1, off
	v_lshlrev_b64 v[0:1], 2, v[8:9]
	v_add_co_u32_e32 v0, vcc, v2, v0
	v_addc_co_u32_e32 v1, vcc, v6, v1, vcc
	s_waitcnt lgkmcnt(0)
	global_store_dword v[0:1], v3, off
.LBB0_29:
	s_endpgm
	.section	.rodata,"a",@progbits
	.p2align	6, 0x0
	.amdhsa_kernel fft_rtc_back_len1650_factors_11_2_3_5_5_wgs_110_tpt_110_halfLds_half_op_CI_CI_unitstride_sbrr_C2R_dirReg
		.amdhsa_group_segment_fixed_size 0
		.amdhsa_private_segment_fixed_size 0
		.amdhsa_kernarg_size 104
		.amdhsa_user_sgpr_count 6
		.amdhsa_user_sgpr_private_segment_buffer 1
		.amdhsa_user_sgpr_dispatch_ptr 0
		.amdhsa_user_sgpr_queue_ptr 0
		.amdhsa_user_sgpr_kernarg_segment_ptr 1
		.amdhsa_user_sgpr_dispatch_id 0
		.amdhsa_user_sgpr_flat_scratch_init 0
		.amdhsa_user_sgpr_private_segment_size 0
		.amdhsa_uses_dynamic_stack 0
		.amdhsa_system_sgpr_private_segment_wavefront_offset 0
		.amdhsa_system_sgpr_workgroup_id_x 1
		.amdhsa_system_sgpr_workgroup_id_y 0
		.amdhsa_system_sgpr_workgroup_id_z 0
		.amdhsa_system_sgpr_workgroup_info 0
		.amdhsa_system_vgpr_workitem_id 0
		.amdhsa_next_free_vgpr 85
		.amdhsa_next_free_sgpr 28
		.amdhsa_reserve_vcc 1
		.amdhsa_reserve_flat_scratch 0
		.amdhsa_float_round_mode_32 0
		.amdhsa_float_round_mode_16_64 0
		.amdhsa_float_denorm_mode_32 3
		.amdhsa_float_denorm_mode_16_64 3
		.amdhsa_dx10_clamp 1
		.amdhsa_ieee_mode 1
		.amdhsa_fp16_overflow 0
		.amdhsa_exception_fp_ieee_invalid_op 0
		.amdhsa_exception_fp_denorm_src 0
		.amdhsa_exception_fp_ieee_div_zero 0
		.amdhsa_exception_fp_ieee_overflow 0
		.amdhsa_exception_fp_ieee_underflow 0
		.amdhsa_exception_fp_ieee_inexact 0
		.amdhsa_exception_int_div_zero 0
	.end_amdhsa_kernel
	.text
.Lfunc_end0:
	.size	fft_rtc_back_len1650_factors_11_2_3_5_5_wgs_110_tpt_110_halfLds_half_op_CI_CI_unitstride_sbrr_C2R_dirReg, .Lfunc_end0-fft_rtc_back_len1650_factors_11_2_3_5_5_wgs_110_tpt_110_halfLds_half_op_CI_CI_unitstride_sbrr_C2R_dirReg
                                        ; -- End function
	.section	.AMDGPU.csdata,"",@progbits
; Kernel info:
; codeLenInByte = 14264
; NumSgprs: 32
; NumVgprs: 85
; ScratchSize: 0
; MemoryBound: 0
; FloatMode: 240
; IeeeMode: 1
; LDSByteSize: 0 bytes/workgroup (compile time only)
; SGPRBlocks: 3
; VGPRBlocks: 21
; NumSGPRsForWavesPerEU: 32
; NumVGPRsForWavesPerEU: 85
; Occupancy: 2
; WaveLimiterHint : 1
; COMPUTE_PGM_RSRC2:SCRATCH_EN: 0
; COMPUTE_PGM_RSRC2:USER_SGPR: 6
; COMPUTE_PGM_RSRC2:TRAP_HANDLER: 0
; COMPUTE_PGM_RSRC2:TGID_X_EN: 1
; COMPUTE_PGM_RSRC2:TGID_Y_EN: 0
; COMPUTE_PGM_RSRC2:TGID_Z_EN: 0
; COMPUTE_PGM_RSRC2:TIDIG_COMP_CNT: 0
	.type	__hip_cuid_fdac4621004ee656,@object ; @__hip_cuid_fdac4621004ee656
	.section	.bss,"aw",@nobits
	.globl	__hip_cuid_fdac4621004ee656
__hip_cuid_fdac4621004ee656:
	.byte	0                               ; 0x0
	.size	__hip_cuid_fdac4621004ee656, 1

	.ident	"AMD clang version 19.0.0git (https://github.com/RadeonOpenCompute/llvm-project roc-6.4.0 25133 c7fe45cf4b819c5991fe208aaa96edf142730f1d)"
	.section	".note.GNU-stack","",@progbits
	.addrsig
	.addrsig_sym __hip_cuid_fdac4621004ee656
	.amdgpu_metadata
---
amdhsa.kernels:
  - .args:
      - .actual_access:  read_only
        .address_space:  global
        .offset:         0
        .size:           8
        .value_kind:     global_buffer
      - .offset:         8
        .size:           8
        .value_kind:     by_value
      - .actual_access:  read_only
        .address_space:  global
        .offset:         16
        .size:           8
        .value_kind:     global_buffer
      - .actual_access:  read_only
        .address_space:  global
        .offset:         24
        .size:           8
        .value_kind:     global_buffer
      - .actual_access:  read_only
        .address_space:  global
        .offset:         32
        .size:           8
        .value_kind:     global_buffer
      - .offset:         40
        .size:           8
        .value_kind:     by_value
      - .actual_access:  read_only
        .address_space:  global
        .offset:         48
        .size:           8
        .value_kind:     global_buffer
      - .actual_access:  read_only
        .address_space:  global
        .offset:         56
        .size:           8
        .value_kind:     global_buffer
      - .offset:         64
        .size:           4
        .value_kind:     by_value
      - .actual_access:  read_only
        .address_space:  global
        .offset:         72
        .size:           8
        .value_kind:     global_buffer
      - .actual_access:  read_only
        .address_space:  global
        .offset:         80
        .size:           8
        .value_kind:     global_buffer
      - .actual_access:  read_only
        .address_space:  global
        .offset:         88
        .size:           8
        .value_kind:     global_buffer
      - .actual_access:  write_only
        .address_space:  global
        .offset:         96
        .size:           8
        .value_kind:     global_buffer
    .group_segment_fixed_size: 0
    .kernarg_segment_align: 8
    .kernarg_segment_size: 104
    .language:       OpenCL C
    .language_version:
      - 2
      - 0
    .max_flat_workgroup_size: 110
    .name:           fft_rtc_back_len1650_factors_11_2_3_5_5_wgs_110_tpt_110_halfLds_half_op_CI_CI_unitstride_sbrr_C2R_dirReg
    .private_segment_fixed_size: 0
    .sgpr_count:     32
    .sgpr_spill_count: 0
    .symbol:         fft_rtc_back_len1650_factors_11_2_3_5_5_wgs_110_tpt_110_halfLds_half_op_CI_CI_unitstride_sbrr_C2R_dirReg.kd
    .uniform_work_group_size: 1
    .uses_dynamic_stack: false
    .vgpr_count:     85
    .vgpr_spill_count: 0
    .wavefront_size: 64
amdhsa.target:   amdgcn-amd-amdhsa--gfx906
amdhsa.version:
  - 1
  - 2
...

	.end_amdgpu_metadata
